;; amdgpu-corpus repo=ROCm/rocSPARSE kind=compiled arch=gfx906 opt=O3
	.amdgcn_target "amdgcn-amd-amdhsa--gfx906"
	.amdhsa_code_object_version 6
	.section	.text._ZN9rocsparseL30bellmm_general_blockdim_kernelILi32ELi32EiiiiiEEv20rocsparse_operation_S1_20rocsparse_direction_T2_S3_NS_24const_host_device_scalarIT1_EES3_S3_PKS3_PKT3_PKT4_l16rocsparse_order_S6_PT5_lSF_21rocsparse_index_base_b,"axG",@progbits,_ZN9rocsparseL30bellmm_general_blockdim_kernelILi32ELi32EiiiiiEEv20rocsparse_operation_S1_20rocsparse_direction_T2_S3_NS_24const_host_device_scalarIT1_EES3_S3_PKS3_PKT3_PKT4_l16rocsparse_order_S6_PT5_lSF_21rocsparse_index_base_b,comdat
	.globl	_ZN9rocsparseL30bellmm_general_blockdim_kernelILi32ELi32EiiiiiEEv20rocsparse_operation_S1_20rocsparse_direction_T2_S3_NS_24const_host_device_scalarIT1_EES3_S3_PKS3_PKT3_PKT4_l16rocsparse_order_S6_PT5_lSF_21rocsparse_index_base_b ; -- Begin function _ZN9rocsparseL30bellmm_general_blockdim_kernelILi32ELi32EiiiiiEEv20rocsparse_operation_S1_20rocsparse_direction_T2_S3_NS_24const_host_device_scalarIT1_EES3_S3_PKS3_PKT3_PKT4_l16rocsparse_order_S6_PT5_lSF_21rocsparse_index_base_b
	.p2align	8
	.type	_ZN9rocsparseL30bellmm_general_blockdim_kernelILi32ELi32EiiiiiEEv20rocsparse_operation_S1_20rocsparse_direction_T2_S3_NS_24const_host_device_scalarIT1_EES3_S3_PKS3_PKT3_PKT4_l16rocsparse_order_S6_PT5_lSF_21rocsparse_index_base_b,@function
_ZN9rocsparseL30bellmm_general_blockdim_kernelILi32ELi32EiiiiiEEv20rocsparse_operation_S1_20rocsparse_direction_T2_S3_NS_24const_host_device_scalarIT1_EES3_S3_PKS3_PKT3_PKT4_l16rocsparse_order_S6_PT5_lSF_21rocsparse_index_base_b: ; @_ZN9rocsparseL30bellmm_general_blockdim_kernelILi32ELi32EiiiiiEEv20rocsparse_operation_S1_20rocsparse_direction_T2_S3_NS_24const_host_device_scalarIT1_EES3_S3_PKS3_PKT3_PKT4_l16rocsparse_order_S6_PT5_lSF_21rocsparse_index_base_b
; %bb.0:
	s_load_dwordx4 s[20:23], s[4:5], 0x68
	s_load_dwordx2 s[8:9], s[4:5], 0x18
	s_mov_b64 s[10:11], -1
                                        ; implicit-def: $sgpr33
	s_waitcnt lgkmcnt(0)
	s_bitcmp1_b32 s22, 0
	s_cselect_b64 s[0:1], -1, 0
	s_xor_b64 s[2:3], s[0:1], -1
	s_and_b64 vcc, exec, s[2:3]
	s_cbranch_vccnz .LBB0_4
; %bb.1:
	s_load_dwordx2 s[0:1], s[4:5], 0x50
	s_andn2_b64 vcc, exec, s[10:11]
	s_cbranch_vccz .LBB0_5
.LBB0_2:
	s_and_b64 vcc, exec, s[2:3]
	s_cbranch_vccz .LBB0_6
.LBB0_3:
	s_waitcnt lgkmcnt(0)
	s_load_dword s48, s[0:1], 0x0
	s_cbranch_execz .LBB0_7
	s_branch .LBB0_8
.LBB0_4:
	s_load_dword s33, s[8:9], 0x0
	s_load_dwordx2 s[0:1], s[4:5], 0x50
	s_cbranch_execnz .LBB0_2
.LBB0_5:
	s_waitcnt lgkmcnt(0)
	s_mov_b32 s33, s8
	s_and_b64 vcc, exec, s[2:3]
	s_cbranch_vccnz .LBB0_3
.LBB0_6:
                                        ; implicit-def: $sgpr48
.LBB0_7:
	s_waitcnt lgkmcnt(0)
	s_mov_b32 s48, s0
.LBB0_8:
	s_waitcnt lgkmcnt(0)
	s_cmp_eq_u32 s33, 0
	s_cselect_b64 s[0:1], -1, 0
	s_cmp_eq_u32 s48, 1
	s_cselect_b64 s[2:3], -1, 0
	s_and_b64 s[0:1], s[0:1], s[2:3]
	s_mov_b32 s49, 0
	s_and_b64 vcc, exec, s[0:1]
	s_cbranch_vccnz .LBB0_48
; %bb.9:
	s_load_dwordx4 s[8:11], s[4:5], 0x4
	s_load_dwordx2 s[22:23], s[4:5], 0x20
	s_waitcnt lgkmcnt(0)
	s_cmp_lt_i32 s6, s10
	s_cselect_b64 s[2:3], -1, 0
	s_cmp_ge_i32 s6, s10
	s_cbranch_scc1 .LBB0_11
; %bb.10:
	s_abs_i32 s0, s23
	v_cvt_f32_u32_e32 v2, s0
	s_sub_i32 s13, 0, s0
	s_abs_i32 s12, s22
	s_xor_b32 s1, s22, s23
	v_rcp_iflag_f32_e32 v2, v2
	s_ashr_i32 s1, s1, 31
	v_mul_f32_e32 v2, 0x4f7ffffe, v2
	v_cvt_u32_f32_e32 v2, v2
	v_readfirstlane_b32 s14, v2
	s_mul_i32 s13, s13, s14
	s_mul_hi_u32 s13, s14, s13
	s_add_i32 s14, s14, s13
	s_mul_hi_u32 s13, s12, s14
	s_mul_i32 s14, s13, s0
	s_sub_i32 s12, s12, s14
	s_add_i32 s15, s13, 1
	s_sub_i32 s14, s12, s0
	s_cmp_ge_u32 s12, s0
	s_cselect_b32 s13, s15, s13
	s_cselect_b32 s12, s14, s12
	s_add_i32 s14, s13, 1
	s_cmp_ge_u32 s12, s0
	s_cselect_b32 s0, s14, s13
	s_xor_b32 s0, s0, s1
	s_sub_i32 s49, s0, s1
.LBB0_11:
	s_cmp_lt_i32 s23, 1
	s_cbranch_scc1 .LBB0_48
; %bb.12:
	s_load_dwordx8 s[12:19], s[4:5], 0x28
	v_lshl_add_u32 v2, s7, 5, v1
	v_ashrrev_i32_e32 v3, 31, v2
	s_load_dwordx4 s[24:27], s[4:5], 0x58
	s_load_dword s28, s[4:5], 0x48
	s_cmp_gt_i32 s49, 0
	s_waitcnt lgkmcnt(0)
	v_mul_lo_u32 v6, s18, v3
	v_mul_lo_u32 v7, s19, v2
	v_mad_u64_u32 v[4:5], s[0:1], s18, v2, 0
	v_mov_b32_e32 v8, s17
	s_cselect_b64 s[4:5], -1, 0
	v_add3_u32 v5, v5, v6, v7
	v_lshlrev_b64 v[6:7], 2, v[2:3]
	v_lshlrev_b64 v[4:5], 2, v[4:5]
	v_add_co_u32_e32 v10, vcc, s16, v6
	v_addc_co_u32_e32 v11, vcc, v8, v7, vcc
	s_cmpk_eq_i32 s8, 0x6f
	s_cselect_b64 s[36:37], -1, 0
	s_cmp_lg_u32 s28, 1
	v_mov_b32_e32 v7, s17
	v_add_co_u32_e32 v14, vcc, s16, v4
	s_cselect_b64 s[38:39], -1, 0
	v_addc_co_u32_e32 v15, vcc, v7, v5, vcc
	s_cmp_lg_u32 s9, 0
	v_mul_lo_u32 v7, s26, v3
	v_mul_lo_u32 v8, s27, v2
	v_mad_u64_u32 v[4:5], s[8:9], s26, v2, 0
	s_mul_i32 s7, s23, s6
	v_cmp_gt_i32_e64 s[0:1], s11, v2
	s_cselect_b64 s[16:17], -1, 0
	s_cmp_lg_u32 s20, 1
	v_add3_u32 v5, v5, v7, v8
	v_add_u32_e32 v7, s7, v1
	s_cselect_b64 s[28:29], -1, 0
	s_and_b64 s[30:31], s[2:3], s[0:1]
	v_mul_lo_u32 v16, s23, v7
	v_lshlrev_b32_e32 v12, 2, v0
	s_cmp_lg_u32 s48, 0
	v_or_b32_e32 v6, 0x1000, v12
	v_lshlrev_b32_e32 v13, 7, v1
	s_cselect_b64 s[34:35], -1, 0
	s_xor_b64 s[2:3], s[36:37], s[38:39]
	s_mul_i32 s11, s23, s23
	v_cndmask_b32_e64 v7, 0, 1, s[4:5]
	s_mov_b32 s22, 0
	s_xor_b64 s[36:37], s[2:3], -1
	s_mul_i32 s11, s11, s10
	s_lshl_b32 s20, s23, 5
	v_cmp_ne_u32_e64 s[2:3], 1, v7
	v_mov_b32_e32 v7, 0
	v_add_u32_e32 v17, v6, v13
	v_add_u32_e32 v18, v12, v13
	;; [unrolled: 1-line block ×3, first 2 shown]
	s_branch .LBB0_14
.LBB0_13:                               ;   in Loop: Header=BB0_14 Depth=1
	s_or_b64 exec, exec, s[4:5]
	s_add_i32 s22, s22, 32
	s_cmp_lt_i32 s22, s23
	v_add_u32_e32 v16, 32, v16
	s_cbranch_scc0 .LBB0_48
.LBB0_14:                               ; =>This Loop Header: Depth=1
                                        ;     Child Loop BB0_17 Depth 2
                                        ;       Child Loop BB0_19 Depth 3
	v_add_u32_e32 v20, s22, v0
	s_and_b64 vcc, exec, s[2:3]
	v_cmp_gt_i32_e64 s[4:5], s23, v20
	v_mov_b32_e32 v22, v7
	s_cbranch_vccnz .LBB0_39
; %bb.15:                               ;   in Loop: Header=BB0_14 Depth=1
	v_mov_b32_e32 v22, 0
	s_mov_b32 s50, 0
	v_mov_b32_e32 v21, v16
	s_branch .LBB0_17
.LBB0_16:                               ;   in Loop: Header=BB0_17 Depth=2
	s_add_i32 s50, s50, 1
	s_cmp_eq_u32 s50, s49
	v_add_u32_e32 v21, s11, v21
	s_cbranch_scc1 .LBB0_39
.LBB0_17:                               ;   Parent Loop BB0_14 Depth=1
                                        ; =>  This Loop Header: Depth=2
                                        ;       Child Loop BB0_19 Depth 3
	s_mul_i32 s8, s50, s10
	s_add_i32 s8, s8, s6
	s_ashr_i32 s9, s8, 31
	s_lshl_b64 s[38:39], s[8:9], 2
	s_add_u32 s38, s12, s38
	s_addc_u32 s39, s13, s39
	s_load_dword s9, s[38:39], 0x0
	s_mul_i32 s8, s8, s23
	v_add_u32_e32 v6, s8, v20
	v_mul_lo_u32 v23, v6, s23
	v_add_u32_e32 v25, v0, v21
	s_waitcnt lgkmcnt(0)
	s_sub_i32 s8, s9, s21
	s_cmp_gt_i32 s8, -1
	s_cselect_b64 s[38:39], -1, 0
	s_mul_i32 s8, s8, s23
	v_cndmask_b32_e64 v6, 0, 1, s[38:39]
	v_add_u32_e32 v24, s8, v0
	v_cmp_ne_u32_e64 s[8:9], 1, v6
	s_mov_b32 s51, 0
	s_mov_b32 s52, 0
	s_branch .LBB0_19
.LBB0_18:                               ;   in Loop: Header=BB0_19 Depth=3
	s_add_i32 s52, s52, 32
	s_add_i32 s51, s51, s20
	s_cmp_ge_i32 s52, s23
	s_barrier
	s_cbranch_scc1 .LBB0_16
.LBB0_19:                               ;   Parent Loop BB0_14 Depth=1
                                        ;     Parent Loop BB0_17 Depth=2
                                        ; =>    This Inner Loop Header: Depth=3
	v_add_u32_e32 v6, s52, v0
	v_cmp_gt_i32_e32 vcc, s23, v6
	s_and_b64 s[40:41], s[0:1], vcc
	s_and_b64 s[40:41], s[40:41], s[38:39]
	s_mov_b64 s[42:43], -1
	s_and_b64 vcc, exec, s[36:37]
                                        ; implicit-def: $vgpr8
	s_cbranch_vccz .LBB0_23
; %bb.20:                               ;   in Loop: Header=BB0_19 Depth=3
	v_mov_b32_e32 v8, 0
	s_and_saveexec_b64 s[42:43], s[40:41]
	s_cbranch_execz .LBB0_22
; %bb.21:                               ;   in Loop: Header=BB0_19 Depth=3
	v_add_u32_e32 v26, s52, v24
	v_mad_u64_u32 v[8:9], s[44:45], s18, v26, 0
	v_mov_b32_e32 v6, v9
	v_mad_u64_u32 v[26:27], s[44:45], s19, v26, v[6:7]
	v_mov_b32_e32 v9, v26
	v_lshlrev_b64 v[8:9], 2, v[8:9]
	v_add_co_u32_e32 v8, vcc, v10, v8
	v_addc_co_u32_e32 v9, vcc, v11, v9, vcc
	global_load_dword v8, v[8:9], off
.LBB0_22:                               ;   in Loop: Header=BB0_19 Depth=3
	s_or_b64 exec, exec, s[42:43]
	s_mov_b64 s[42:43], 0
.LBB0_23:                               ;   in Loop: Header=BB0_19 Depth=3
	s_andn2_b64 vcc, exec, s[42:43]
	s_cbranch_vccnz .LBB0_27
; %bb.24:                               ;   in Loop: Header=BB0_19 Depth=3
	s_waitcnt vmcnt(0)
	v_mov_b32_e32 v8, 0
	s_and_saveexec_b64 s[42:43], s[40:41]
	s_cbranch_execz .LBB0_26
; %bb.25:                               ;   in Loop: Header=BB0_19 Depth=3
	v_add_u32_e32 v6, s52, v24
	v_lshlrev_b64 v[8:9], 2, v[6:7]
	v_add_co_u32_e32 v8, vcc, v14, v8
	v_addc_co_u32_e32 v9, vcc, v15, v9, vcc
	global_load_dword v8, v[8:9], off
.LBB0_26:                               ;   in Loop: Header=BB0_19 Depth=3
	s_or_b64 exec, exec, s[42:43]
.LBB0_27:                               ;   in Loop: Header=BB0_19 Depth=3
	v_add_u32_e32 v6, s52, v1
	v_cmp_gt_i32_e32 vcc, s23, v6
	s_and_b64 s[40:41], s[4:5], vcc
	s_and_b64 s[42:43], s[40:41], s[38:39]
	s_and_b64 vcc, exec, s[16:17]
	s_waitcnt vmcnt(0)
	ds_write_b32 v17, v8
	s_cbranch_vccz .LBB0_35
; %bb.28:                               ;   in Loop: Header=BB0_19 Depth=3
	s_mov_b64 s[44:45], 0
	s_mov_b64 s[40:41], 0
                                        ; implicit-def: $vgpr8
	s_and_saveexec_b64 s[46:47], s[42:43]
	s_xor_b64 s[46:47], exec, s[46:47]
; %bb.29:                               ;   in Loop: Header=BB0_19 Depth=3
	s_mov_b64 s[40:41], exec
	v_add_u32_e32 v8, s51, v25
; %bb.30:                               ;   in Loop: Header=BB0_19 Depth=3
	s_or_b64 exec, exec, s[46:47]
	s_and_b64 vcc, exec, s[44:45]
	s_cbranch_vccnz .LBB0_36
.LBB0_31:                               ;   in Loop: Header=BB0_19 Depth=3
	v_mov_b32_e32 v6, 0
	s_and_saveexec_b64 s[42:43], s[40:41]
	s_cbranch_execz .LBB0_33
.LBB0_32:                               ;   in Loop: Header=BB0_19 Depth=3
	v_ashrrev_i32_e32 v9, 31, v8
	v_lshlrev_b64 v[8:9], 2, v[8:9]
	v_mov_b32_e32 v6, s15
	v_add_co_u32_e32 v8, vcc, s14, v8
	v_addc_co_u32_e32 v9, vcc, v6, v9, vcc
	global_load_dword v6, v[8:9], off
.LBB0_33:                               ;   in Loop: Header=BB0_19 Depth=3
	s_or_b64 exec, exec, s[42:43]
	s_and_b64 vcc, exec, s[8:9]
	s_waitcnt vmcnt(0)
	ds_write_b32 v18, v6
	s_waitcnt lgkmcnt(0)
	s_barrier
	s_cbranch_vccnz .LBB0_18
; %bb.34:                               ;   in Loop: Header=BB0_19 Depth=3
	ds_read2_b32 v[8:9], v12 offset1:32
	ds_read_b128 v[26:29], v13 offset:4096
	ds_read2_b32 v[34:35], v12 offset0:64 offset1:96
	ds_read_b128 v[30:33], v13 offset:4112
	s_waitcnt lgkmcnt(2)
	v_mul_lo_u32 v6, v26, v8
	v_mul_lo_u32 v40, v27, v9
	s_waitcnt lgkmcnt(1)
	v_mul_lo_u32 v41, v28, v34
	v_mul_lo_u32 v42, v29, v35
	ds_read2_b32 v[8:9], v12 offset0:128 offset1:160
	ds_read_b128 v[26:29], v13 offset:4128
	ds_read_b128 v[34:37], v13 offset:4144
	ds_read2_b32 v[38:39], v12 offset0:192 offset1:224
	v_add3_u32 v6, v6, v22, v40
	s_waitcnt lgkmcnt(3)
	v_mul_lo_u32 v22, v30, v8
	v_mul_lo_u32 v30, v31, v9
	v_add3_u32 v6, v6, v41, v42
	s_waitcnt lgkmcnt(0)
	v_mul_lo_u32 v32, v32, v38
	v_mul_lo_u32 v33, v33, v39
	ds_read2_b32 v[8:9], v19 offset1:32
	v_add3_u32 v6, v6, v22, v30
	ds_read2_b32 v[30:31], v19 offset0:64 offset1:96
	v_add3_u32 v6, v6, v32, v33
	ds_read2_b32 v[32:33], v19 offset0:128 offset1:160
	s_waitcnt lgkmcnt(2)
	v_mul_lo_u32 v8, v26, v8
	v_mul_lo_u32 v9, v27, v9
	s_waitcnt lgkmcnt(1)
	v_mul_lo_u32 v22, v28, v30
	v_mul_lo_u32 v26, v29, v31
	s_waitcnt lgkmcnt(0)
	v_mul_lo_u32 v27, v34, v32
	v_mul_lo_u32 v28, v35, v33
	v_add3_u32 v6, v6, v8, v9
	v_add3_u32 v6, v6, v22, v26
	ds_read2_b32 v[8:9], v19 offset0:192 offset1:224
	v_add_u32_e32 v22, 0x800, v12
	v_add3_u32 v6, v6, v27, v28
	ds_read2_b32 v[34:35], v22 offset1:32
	ds_read_b128 v[26:29], v13 offset:4160
	ds_read2_b32 v[38:39], v22 offset0:64 offset1:96
	s_waitcnt lgkmcnt(3)
	v_mul_lo_u32 v36, v36, v8
	v_mul_lo_u32 v37, v37, v9
	ds_read_b128 v[30:33], v13 offset:4176
	ds_read2_b32 v[8:9], v22 offset0:128 offset1:160
	s_waitcnt lgkmcnt(3)
	v_mul_lo_u32 v34, v26, v34
	v_mul_lo_u32 v35, v27, v35
	ds_read2_b32 v[26:27], v22 offset0:192 offset1:224
	s_waitcnt lgkmcnt(3)
	v_mul_lo_u32 v28, v28, v38
	v_mul_lo_u32 v29, v29, v39
	v_add3_u32 v6, v6, v36, v37
	v_add3_u32 v6, v6, v34, v35
	s_waitcnt lgkmcnt(1)
	v_mul_lo_u32 v22, v30, v8
	v_mul_lo_u32 v30, v31, v9
	v_add_u32_e32 v38, 0xc00, v12
	v_add3_u32 v6, v6, v28, v29
	s_waitcnt lgkmcnt(0)
	v_mul_lo_u32 v31, v32, v26
	v_mul_lo_u32 v32, v33, v27
	ds_read2_b32 v[8:9], v38 offset1:32
	ds_read_b128 v[26:29], v13 offset:4192
	v_add3_u32 v6, v6, v22, v30
	v_add3_u32 v6, v6, v31, v32
	ds_read2_b32 v[34:35], v38 offset0:64 offset1:96
	ds_read_b128 v[30:33], v13 offset:4208
	ds_read2_b32 v[36:37], v38 offset0:128 offset1:160
	s_waitcnt lgkmcnt(3)
	v_mul_lo_u32 v22, v26, v8
	v_mul_lo_u32 v26, v27, v9
	ds_read2_b32 v[8:9], v38 offset0:192 offset1:224
	s_waitcnt lgkmcnt(3)
	v_mul_lo_u32 v27, v28, v34
	v_mul_lo_u32 v28, v29, v35
	s_waitcnt lgkmcnt(1)
	v_mul_lo_u32 v29, v30, v36
	v_mul_lo_u32 v30, v31, v37
	;; [unrolled: 3-line block ×3, first 2 shown]
	v_add3_u32 v6, v6, v22, v26
	v_add3_u32 v6, v6, v27, v28
	;; [unrolled: 1-line block ×4, first 2 shown]
	s_branch .LBB0_18
.LBB0_35:                               ;   in Loop: Header=BB0_19 Depth=3
	s_mov_b64 s[40:41], 0
                                        ; implicit-def: $vgpr8
	s_cbranch_execz .LBB0_31
.LBB0_36:                               ;   in Loop: Header=BB0_19 Depth=3
                                        ; implicit-def: $vgpr8
	s_and_saveexec_b64 s[44:45], s[42:43]
; %bb.37:                               ;   in Loop: Header=BB0_19 Depth=3
	v_add_u32_e32 v8, v6, v23
	s_or_b64 s[40:41], s[40:41], exec
; %bb.38:                               ;   in Loop: Header=BB0_19 Depth=3
	s_or_b64 exec, exec, s[44:45]
	v_mov_b32_e32 v6, 0
	s_and_saveexec_b64 s[42:43], s[40:41]
	s_cbranch_execnz .LBB0_32
	s_branch .LBB0_33
.LBB0_39:                               ;   in Loop: Header=BB0_14 Depth=1
	v_add_u32_e32 v6, s7, v20
	v_ashrrev_i32_e32 v21, 31, v6
	s_mov_b64 s[4:5], -1
	s_and_b64 vcc, exec, s[28:29]
                                        ; implicit-def: $vgpr8_vgpr9
	s_cbranch_vccnz .LBB0_42
; %bb.40:                               ;   in Loop: Header=BB0_14 Depth=1
	s_andn2_b64 vcc, exec, s[4:5]
	s_cbranch_vccz .LBB0_43
.LBB0_41:                               ;   in Loop: Header=BB0_14 Depth=1
	v_cmp_gt_i32_e32 vcc, s23, v20
	s_and_b64 s[8:9], s[30:31], vcc
	s_and_saveexec_b64 s[4:5], s[8:9]
	s_cbranch_execz .LBB0_13
	s_branch .LBB0_44
.LBB0_42:                               ;   in Loop: Header=BB0_14 Depth=1
	v_mad_u64_u32 v[8:9], s[4:5], s26, v6, v[2:3]
	v_mul_lo_u32 v23, s26, v21
	v_mul_lo_u32 v24, s27, v6
	v_add3_u32 v9, v24, v9, v23
	s_cbranch_execnz .LBB0_41
.LBB0_43:                               ;   in Loop: Header=BB0_14 Depth=1
	v_add_co_u32_e32 v8, vcc, v4, v6
	v_addc_co_u32_e32 v9, vcc, v5, v21, vcc
	v_cmp_gt_i32_e32 vcc, s23, v20
	s_and_b64 s[8:9], s[30:31], vcc
	s_and_saveexec_b64 s[4:5], s[8:9]
	s_cbranch_execz .LBB0_13
.LBB0_44:                               ;   in Loop: Header=BB0_14 Depth=1
	v_mul_lo_u32 v6, v22, s33
	v_lshlrev_b64 v[8:9], 2, v[8:9]
	s_and_b64 vcc, exec, s[34:35]
	s_cbranch_vccz .LBB0_46
; %bb.45:                               ;   in Loop: Header=BB0_14 Depth=1
	v_mov_b32_e32 v21, s25
	v_add_co_u32_e32 v20, vcc, s24, v8
	v_addc_co_u32_e32 v21, vcc, v21, v9, vcc
	global_load_dword v22, v[20:21], off
	s_waitcnt vmcnt(0)
	v_mad_u64_u32 v[22:23], s[8:9], v22, s48, v[6:7]
	global_store_dword v[20:21], v22, off
	s_cbranch_execnz .LBB0_13
	s_branch .LBB0_47
.LBB0_46:                               ;   in Loop: Header=BB0_14 Depth=1
.LBB0_47:                               ;   in Loop: Header=BB0_14 Depth=1
	v_mov_b32_e32 v20, s25
	v_add_co_u32_e32 v8, vcc, s24, v8
	v_addc_co_u32_e32 v9, vcc, v20, v9, vcc
	global_store_dword v[8:9], v6, off
	s_branch .LBB0_13
.LBB0_48:
	s_endpgm
	.section	.rodata,"a",@progbits
	.p2align	6, 0x0
	.amdhsa_kernel _ZN9rocsparseL30bellmm_general_blockdim_kernelILi32ELi32EiiiiiEEv20rocsparse_operation_S1_20rocsparse_direction_T2_S3_NS_24const_host_device_scalarIT1_EES3_S3_PKS3_PKT3_PKT4_l16rocsparse_order_S6_PT5_lSF_21rocsparse_index_base_b
		.amdhsa_group_segment_fixed_size 8192
		.amdhsa_private_segment_fixed_size 0
		.amdhsa_kernarg_size 116
		.amdhsa_user_sgpr_count 6
		.amdhsa_user_sgpr_private_segment_buffer 1
		.amdhsa_user_sgpr_dispatch_ptr 0
		.amdhsa_user_sgpr_queue_ptr 0
		.amdhsa_user_sgpr_kernarg_segment_ptr 1
		.amdhsa_user_sgpr_dispatch_id 0
		.amdhsa_user_sgpr_flat_scratch_init 0
		.amdhsa_user_sgpr_private_segment_size 0
		.amdhsa_uses_dynamic_stack 0
		.amdhsa_system_sgpr_private_segment_wavefront_offset 0
		.amdhsa_system_sgpr_workgroup_id_x 1
		.amdhsa_system_sgpr_workgroup_id_y 1
		.amdhsa_system_sgpr_workgroup_id_z 0
		.amdhsa_system_sgpr_workgroup_info 0
		.amdhsa_system_vgpr_workitem_id 1
		.amdhsa_next_free_vgpr 43
		.amdhsa_next_free_sgpr 61
		.amdhsa_reserve_vcc 1
		.amdhsa_reserve_flat_scratch 0
		.amdhsa_float_round_mode_32 0
		.amdhsa_float_round_mode_16_64 0
		.amdhsa_float_denorm_mode_32 3
		.amdhsa_float_denorm_mode_16_64 3
		.amdhsa_dx10_clamp 1
		.amdhsa_ieee_mode 1
		.amdhsa_fp16_overflow 0
		.amdhsa_exception_fp_ieee_invalid_op 0
		.amdhsa_exception_fp_denorm_src 0
		.amdhsa_exception_fp_ieee_div_zero 0
		.amdhsa_exception_fp_ieee_overflow 0
		.amdhsa_exception_fp_ieee_underflow 0
		.amdhsa_exception_fp_ieee_inexact 0
		.amdhsa_exception_int_div_zero 0
	.end_amdhsa_kernel
	.section	.text._ZN9rocsparseL30bellmm_general_blockdim_kernelILi32ELi32EiiiiiEEv20rocsparse_operation_S1_20rocsparse_direction_T2_S3_NS_24const_host_device_scalarIT1_EES3_S3_PKS3_PKT3_PKT4_l16rocsparse_order_S6_PT5_lSF_21rocsparse_index_base_b,"axG",@progbits,_ZN9rocsparseL30bellmm_general_blockdim_kernelILi32ELi32EiiiiiEEv20rocsparse_operation_S1_20rocsparse_direction_T2_S3_NS_24const_host_device_scalarIT1_EES3_S3_PKS3_PKT3_PKT4_l16rocsparse_order_S6_PT5_lSF_21rocsparse_index_base_b,comdat
.Lfunc_end0:
	.size	_ZN9rocsparseL30bellmm_general_blockdim_kernelILi32ELi32EiiiiiEEv20rocsparse_operation_S1_20rocsparse_direction_T2_S3_NS_24const_host_device_scalarIT1_EES3_S3_PKS3_PKT3_PKT4_l16rocsparse_order_S6_PT5_lSF_21rocsparse_index_base_b, .Lfunc_end0-_ZN9rocsparseL30bellmm_general_blockdim_kernelILi32ELi32EiiiiiEEv20rocsparse_operation_S1_20rocsparse_direction_T2_S3_NS_24const_host_device_scalarIT1_EES3_S3_PKS3_PKT3_PKT4_l16rocsparse_order_S6_PT5_lSF_21rocsparse_index_base_b
                                        ; -- End function
	.set _ZN9rocsparseL30bellmm_general_blockdim_kernelILi32ELi32EiiiiiEEv20rocsparse_operation_S1_20rocsparse_direction_T2_S3_NS_24const_host_device_scalarIT1_EES3_S3_PKS3_PKT3_PKT4_l16rocsparse_order_S6_PT5_lSF_21rocsparse_index_base_b.num_vgpr, 43
	.set _ZN9rocsparseL30bellmm_general_blockdim_kernelILi32ELi32EiiiiiEEv20rocsparse_operation_S1_20rocsparse_direction_T2_S3_NS_24const_host_device_scalarIT1_EES3_S3_PKS3_PKT3_PKT4_l16rocsparse_order_S6_PT5_lSF_21rocsparse_index_base_b.num_agpr, 0
	.set _ZN9rocsparseL30bellmm_general_blockdim_kernelILi32ELi32EiiiiiEEv20rocsparse_operation_S1_20rocsparse_direction_T2_S3_NS_24const_host_device_scalarIT1_EES3_S3_PKS3_PKT3_PKT4_l16rocsparse_order_S6_PT5_lSF_21rocsparse_index_base_b.numbered_sgpr, 53
	.set _ZN9rocsparseL30bellmm_general_blockdim_kernelILi32ELi32EiiiiiEEv20rocsparse_operation_S1_20rocsparse_direction_T2_S3_NS_24const_host_device_scalarIT1_EES3_S3_PKS3_PKT3_PKT4_l16rocsparse_order_S6_PT5_lSF_21rocsparse_index_base_b.num_named_barrier, 0
	.set _ZN9rocsparseL30bellmm_general_blockdim_kernelILi32ELi32EiiiiiEEv20rocsparse_operation_S1_20rocsparse_direction_T2_S3_NS_24const_host_device_scalarIT1_EES3_S3_PKS3_PKT3_PKT4_l16rocsparse_order_S6_PT5_lSF_21rocsparse_index_base_b.private_seg_size, 0
	.set _ZN9rocsparseL30bellmm_general_blockdim_kernelILi32ELi32EiiiiiEEv20rocsparse_operation_S1_20rocsparse_direction_T2_S3_NS_24const_host_device_scalarIT1_EES3_S3_PKS3_PKT3_PKT4_l16rocsparse_order_S6_PT5_lSF_21rocsparse_index_base_b.uses_vcc, 1
	.set _ZN9rocsparseL30bellmm_general_blockdim_kernelILi32ELi32EiiiiiEEv20rocsparse_operation_S1_20rocsparse_direction_T2_S3_NS_24const_host_device_scalarIT1_EES3_S3_PKS3_PKT3_PKT4_l16rocsparse_order_S6_PT5_lSF_21rocsparse_index_base_b.uses_flat_scratch, 0
	.set _ZN9rocsparseL30bellmm_general_blockdim_kernelILi32ELi32EiiiiiEEv20rocsparse_operation_S1_20rocsparse_direction_T2_S3_NS_24const_host_device_scalarIT1_EES3_S3_PKS3_PKT3_PKT4_l16rocsparse_order_S6_PT5_lSF_21rocsparse_index_base_b.has_dyn_sized_stack, 0
	.set _ZN9rocsparseL30bellmm_general_blockdim_kernelILi32ELi32EiiiiiEEv20rocsparse_operation_S1_20rocsparse_direction_T2_S3_NS_24const_host_device_scalarIT1_EES3_S3_PKS3_PKT3_PKT4_l16rocsparse_order_S6_PT5_lSF_21rocsparse_index_base_b.has_recursion, 0
	.set _ZN9rocsparseL30bellmm_general_blockdim_kernelILi32ELi32EiiiiiEEv20rocsparse_operation_S1_20rocsparse_direction_T2_S3_NS_24const_host_device_scalarIT1_EES3_S3_PKS3_PKT3_PKT4_l16rocsparse_order_S6_PT5_lSF_21rocsparse_index_base_b.has_indirect_call, 0
	.section	.AMDGPU.csdata,"",@progbits
; Kernel info:
; codeLenInByte = 2032
; TotalNumSgprs: 57
; NumVgprs: 43
; ScratchSize: 0
; MemoryBound: 0
; FloatMode: 240
; IeeeMode: 1
; LDSByteSize: 8192 bytes/workgroup (compile time only)
; SGPRBlocks: 8
; VGPRBlocks: 10
; NumSGPRsForWavesPerEU: 65
; NumVGPRsForWavesPerEU: 43
; Occupancy: 5
; WaveLimiterHint : 1
; COMPUTE_PGM_RSRC2:SCRATCH_EN: 0
; COMPUTE_PGM_RSRC2:USER_SGPR: 6
; COMPUTE_PGM_RSRC2:TRAP_HANDLER: 0
; COMPUTE_PGM_RSRC2:TGID_X_EN: 1
; COMPUTE_PGM_RSRC2:TGID_Y_EN: 1
; COMPUTE_PGM_RSRC2:TGID_Z_EN: 0
; COMPUTE_PGM_RSRC2:TIDIG_COMP_CNT: 1
	.section	.text._ZN9rocsparseL30bellmm_general_blockdim_kernelILi32ELi32EiliiiEEv20rocsparse_operation_S1_20rocsparse_direction_T2_S3_NS_24const_host_device_scalarIT1_EES3_S3_PKS3_PKT3_PKT4_l16rocsparse_order_S6_PT5_lSF_21rocsparse_index_base_b,"axG",@progbits,_ZN9rocsparseL30bellmm_general_blockdim_kernelILi32ELi32EiliiiEEv20rocsparse_operation_S1_20rocsparse_direction_T2_S3_NS_24const_host_device_scalarIT1_EES3_S3_PKS3_PKT3_PKT4_l16rocsparse_order_S6_PT5_lSF_21rocsparse_index_base_b,comdat
	.globl	_ZN9rocsparseL30bellmm_general_blockdim_kernelILi32ELi32EiliiiEEv20rocsparse_operation_S1_20rocsparse_direction_T2_S3_NS_24const_host_device_scalarIT1_EES3_S3_PKS3_PKT3_PKT4_l16rocsparse_order_S6_PT5_lSF_21rocsparse_index_base_b ; -- Begin function _ZN9rocsparseL30bellmm_general_blockdim_kernelILi32ELi32EiliiiEEv20rocsparse_operation_S1_20rocsparse_direction_T2_S3_NS_24const_host_device_scalarIT1_EES3_S3_PKS3_PKT3_PKT4_l16rocsparse_order_S6_PT5_lSF_21rocsparse_index_base_b
	.p2align	8
	.type	_ZN9rocsparseL30bellmm_general_blockdim_kernelILi32ELi32EiliiiEEv20rocsparse_operation_S1_20rocsparse_direction_T2_S3_NS_24const_host_device_scalarIT1_EES3_S3_PKS3_PKT3_PKT4_l16rocsparse_order_S6_PT5_lSF_21rocsparse_index_base_b,@function
_ZN9rocsparseL30bellmm_general_blockdim_kernelILi32ELi32EiliiiEEv20rocsparse_operation_S1_20rocsparse_direction_T2_S3_NS_24const_host_device_scalarIT1_EES3_S3_PKS3_PKT3_PKT4_l16rocsparse_order_S6_PT5_lSF_21rocsparse_index_base_b: ; @_ZN9rocsparseL30bellmm_general_blockdim_kernelILi32ELi32EiliiiEEv20rocsparse_operation_S1_20rocsparse_direction_T2_S3_NS_24const_host_device_scalarIT1_EES3_S3_PKS3_PKT3_PKT4_l16rocsparse_order_S6_PT5_lSF_21rocsparse_index_base_b
; %bb.0:
	s_load_dwordx4 s[8:11], s[4:5], 0x78
	s_load_dwordx8 s[12:19], s[4:5], 0x10
	s_mov_b32 s0, s7
	v_mov_b32_e32 v2, v1
	s_mov_b64 s[20:21], -1
	s_waitcnt lgkmcnt(0)
	s_bitcmp1_b32 s10, 0
	s_cselect_b64 s[2:3], -1, 0
	s_xor_b64 s[10:11], s[2:3], -1
	s_and_b64 vcc, exec, s[10:11]
                                        ; implicit-def: $sgpr33
	s_cbranch_vccnz .LBB1_4
; %bb.1:
	s_load_dwordx2 s[2:3], s[4:5], 0x60
	s_andn2_b64 vcc, exec, s[20:21]
	s_cbranch_vccz .LBB1_5
.LBB1_2:
	s_and_b64 vcc, exec, s[10:11]
	s_cbranch_vccz .LBB1_6
.LBB1_3:
	s_waitcnt lgkmcnt(0)
	s_load_dword s56, s[2:3], 0x0
	s_cbranch_execz .LBB1_7
	s_branch .LBB1_8
.LBB1_4:
	s_load_dword s33, s[16:17], 0x0
	s_load_dwordx2 s[2:3], s[4:5], 0x60
	s_cbranch_execnz .LBB1_2
.LBB1_5:
	s_waitcnt lgkmcnt(0)
	s_mov_b32 s33, s16
	s_and_b64 vcc, exec, s[10:11]
	s_cbranch_vccnz .LBB1_3
.LBB1_6:
                                        ; implicit-def: $sgpr56
.LBB1_7:
	s_waitcnt lgkmcnt(0)
	s_mov_b32 s56, s2
.LBB1_8:
	s_waitcnt lgkmcnt(0)
	s_cmp_eq_u32 s33, 0
	s_cselect_b64 s[2:3], -1, 0
	s_cmp_eq_u32 s56, 1
	s_cselect_b64 s[10:11], -1, 0
	s_and_b64 s[2:3], s[2:3], s[10:11]
	s_mov_b32 s7, 0
	s_and_b64 vcc, exec, s[2:3]
	s_cbranch_vccnz .LBB1_48
; %bb.9:
	s_load_dwordx2 s[10:11], s[4:5], 0x30
	v_mov_b32_e32 v3, s6
	v_mov_b32_e32 v4, s7
	v_cmp_le_i64_e32 vcc, s[12:13], v[3:4]
	v_cmp_gt_i64_e64 s[2:3], s[12:13], v[3:4]
	s_mov_b64 s[28:29], 0
	s_cbranch_vccnz .LBB1_13
; %bb.10:
	s_waitcnt lgkmcnt(0)
	s_or_b64 s[16:17], s[18:19], s[10:11]
	s_mov_b32 s16, 0
	s_cmp_lg_u64 s[16:17], 0
	s_cbranch_scc0 .LBB1_49
; %bb.11:
	s_ashr_i32 s16, s11, 31
	s_add_u32 s20, s10, s16
	s_mov_b32 s17, s16
	s_addc_u32 s21, s11, s16
	s_xor_b64 s[22:23], s[20:21], s[16:17]
	v_cvt_f32_u32_e32 v1, s22
	v_cvt_f32_u32_e32 v3, s23
	s_sub_u32 s1, 0, s22
	s_subb_u32 s7, 0, s23
	v_madmk_f32 v1, v3, 0x4f800000, v1
	v_rcp_f32_e32 v1, v1
	v_mul_f32_e32 v1, 0x5f7ffffc, v1
	v_mul_f32_e32 v3, 0x2f800000, v1
	v_trunc_f32_e32 v3, v3
	v_madmk_f32 v1, v3, 0xcf800000, v1
	v_cvt_u32_f32_e32 v3, v3
	v_cvt_u32_f32_e32 v1, v1
	v_readfirstlane_b32 s26, v3
	v_readfirstlane_b32 s24, v1
	s_mul_i32 s25, s1, s26
	s_mul_hi_u32 s28, s1, s24
	s_mul_i32 s27, s7, s24
	s_add_i32 s25, s28, s25
	s_add_i32 s25, s25, s27
	s_mul_i32 s29, s1, s24
	s_mul_i32 s28, s24, s25
	s_mul_hi_u32 s30, s24, s29
	s_mul_hi_u32 s27, s24, s25
	s_add_u32 s28, s30, s28
	s_addc_u32 s27, 0, s27
	s_mul_hi_u32 s31, s26, s29
	s_mul_i32 s29, s26, s29
	s_add_u32 s28, s28, s29
	s_mul_hi_u32 s30, s26, s25
	s_addc_u32 s27, s27, s31
	s_addc_u32 s28, s30, 0
	s_mul_i32 s25, s26, s25
	s_add_u32 s25, s27, s25
	s_addc_u32 s27, 0, s28
	s_add_u32 s28, s24, s25
	s_cselect_b64 s[24:25], -1, 0
	s_cmp_lg_u64 s[24:25], 0
	s_addc_u32 s26, s26, s27
	s_mul_i32 s24, s1, s26
	s_mul_hi_u32 s25, s1, s28
	s_add_i32 s24, s25, s24
	s_mul_i32 s7, s7, s28
	s_add_i32 s24, s24, s7
	s_mul_i32 s1, s1, s28
	s_mul_hi_u32 s25, s26, s1
	s_mul_i32 s27, s26, s1
	s_mul_i32 s30, s28, s24
	s_mul_hi_u32 s1, s28, s1
	s_mul_hi_u32 s29, s28, s24
	s_add_u32 s1, s1, s30
	s_addc_u32 s29, 0, s29
	s_add_u32 s1, s1, s27
	s_mul_hi_u32 s7, s26, s24
	s_addc_u32 s1, s29, s25
	s_addc_u32 s7, s7, 0
	s_mul_i32 s24, s26, s24
	s_add_u32 s1, s1, s24
	s_addc_u32 s7, 0, s7
	s_add_u32 s1, s28, s1
	s_cselect_b64 s[24:25], -1, 0
	s_cmp_lg_u64 s[24:25], 0
	s_addc_u32 s7, s26, s7
	s_ashr_i32 s24, s19, 31
	s_add_u32 s26, s18, s24
	s_mov_b32 s25, s24
	s_addc_u32 s27, s19, s24
	s_xor_b64 s[26:27], s[26:27], s[24:25]
	s_mul_i32 s28, s26, s7
	s_mul_hi_u32 s29, s26, s1
	s_mul_hi_u32 s19, s26, s7
	s_add_u32 s28, s29, s28
	s_addc_u32 s19, 0, s19
	s_mul_hi_u32 s30, s27, s1
	s_mul_i32 s1, s27, s1
	s_add_u32 s1, s28, s1
	s_mul_hi_u32 s29, s27, s7
	s_addc_u32 s1, s19, s30
	s_addc_u32 s19, s29, 0
	s_mul_i32 s7, s27, s7
	s_add_u32 s1, s1, s7
	s_addc_u32 s7, 0, s19
	s_mul_i32 s19, s22, s7
	s_mul_hi_u32 s28, s22, s1
	s_add_i32 s19, s28, s19
	s_mul_i32 s28, s23, s1
	s_add_i32 s19, s19, s28
	s_sub_i32 s30, s27, s19
	s_mul_i32 s28, s22, s1
	s_sub_u32 s26, s26, s28
	s_cselect_b64 s[28:29], -1, 0
	s_cmp_lg_u64 s[28:29], 0
	s_subb_u32 s34, s30, s23
	s_sub_u32 s35, s26, s22
	s_cselect_b64 s[30:31], -1, 0
	s_cmp_lg_u64 s[30:31], 0
	s_subb_u32 s30, s34, 0
	s_cmp_ge_u32 s30, s23
	s_cselect_b32 s31, -1, 0
	s_cmp_ge_u32 s35, s22
	s_cselect_b32 s34, -1, 0
	s_cmp_eq_u32 s30, s23
	s_cselect_b32 s30, s34, s31
	s_add_u32 s31, s1, 1
	s_addc_u32 s34, s7, 0
	s_add_u32 s35, s1, 2
	s_addc_u32 s36, s7, 0
	s_cmp_lg_u32 s30, 0
	s_cselect_b32 s30, s35, s31
	s_cselect_b32 s31, s36, s34
	s_cmp_lg_u64 s[28:29], 0
	s_subb_u32 s19, s27, s19
	s_cmp_ge_u32 s19, s23
	s_cselect_b32 s27, -1, 0
	s_cmp_ge_u32 s26, s22
	s_cselect_b32 s22, -1, 0
	s_cmp_eq_u32 s19, s23
	s_cselect_b32 s19, s22, s27
	s_cmp_lg_u32 s19, 0
	s_cselect_b32 s23, s31, s7
	s_cselect_b32 s22, s30, s1
	s_xor_b64 s[16:17], s[24:25], s[16:17]
	s_xor_b64 s[22:23], s[22:23], s[16:17]
	s_sub_u32 s28, s22, s16
	s_subb_u32 s29, s23, s17
	s_cbranch_execnz .LBB1_13
.LBB1_12:
	v_cvt_f32_u32_e32 v1, s10
	s_sub_i32 s1, 0, s10
	s_mov_b32 s29, 0
	v_rcp_iflag_f32_e32 v1, v1
	v_mul_f32_e32 v1, 0x4f7ffffe, v1
	v_cvt_u32_f32_e32 v1, v1
	v_readfirstlane_b32 s7, v1
	s_mul_i32 s1, s1, s7
	s_mul_hi_u32 s1, s7, s1
	s_add_i32 s7, s7, s1
	s_mul_hi_u32 s1, s18, s7
	s_mul_i32 s16, s1, s10
	s_sub_i32 s16, s18, s16
	s_add_i32 s7, s1, 1
	s_sub_i32 s17, s16, s10
	s_cmp_ge_u32 s16, s10
	s_cselect_b32 s1, s7, s1
	s_cselect_b32 s16, s17, s16
	s_add_i32 s7, s1, 1
	s_cmp_ge_u32 s16, s10
	s_cselect_b32 s28, s7, s1
.LBB1_13:
	s_waitcnt lgkmcnt(0)
	v_cmp_lt_i64_e64 s[16:17], s[10:11], 1
	s_and_b64 vcc, exec, s[16:17]
	s_cbranch_vccnz .LBB1_48
; %bb.14:
	s_lshl_b32 s0, s0, 5
	v_add_co_u32_e32 v3, vcc, s0, v2
	s_load_dwordx2 s[36:37], s[4:5], 0x4
	s_load_dwordx4 s[24:27], s[4:5], 0x68
	s_load_dword s38, s[4:5], 0x58
	v_addc_co_u32_e64 v4, s[0:1], 0, 0, vcc
	s_mul_i32 s0, s11, s6
	s_mul_hi_u32 s1, s10, s6
	s_load_dwordx8 s[16:23], s[4:5], 0x38
	s_add_i32 s31, s1, s0
	v_cmp_gt_i64_e64 s[0:1], s[14:15], v[3:4]
	s_waitcnt lgkmcnt(0)
	s_cmpk_eq_i32 s36, 0x6f
	v_mul_lo_u32 v6, s27, v3
	v_mul_lo_u32 v9, s26, v4
	v_mad_u64_u32 v[7:8], s[14:15], s26, v3, 0
	s_cselect_b64 s[4:5], -1, 0
	s_cmp_lg_u32 s38, 1
	s_cselect_b64 s[42:43], -1, 0
	s_cmp_lg_u32 s37, 0
	;; [unrolled: 2-line block ×3, first 2 shown]
	s_cselect_b64 s[36:37], -1, 0
	v_add3_u32 v8, v8, v9, v6
	s_and_b64 s[38:39], s[2:3], s[0:1]
	v_mul_lo_u32 v6, s23, v3
	v_mul_lo_u32 v11, s22, v4
	v_mad_u64_u32 v[9:10], s[2:3], s22, v3, 0
	v_lshlrev_b32_e32 v5, 2, v0
	s_cmp_lg_u32 s56, 0
	v_add3_u32 v10, v10, v11, v6
	v_lshlrev_b64 v[9:10], 2, v[9:10]
	s_mul_i32 s30, s10, s6
	s_cselect_b64 s[40:41], -1, 0
	s_xor_b64 s[2:3], s[4:5], s[42:43]
	v_add_co_u32_e32 v9, vcc, v9, v5
	s_xor_b64 s[42:43], s[2:3], -1
	v_addc_co_u32_e32 v10, vcc, 0, v10, vcc
	s_lshl_b64 s[2:3], s[30:31], 2
	v_mov_b32_e32 v1, 0
	v_mov_b32_e32 v16, s3
	v_add_co_u32_e32 v11, vcc, s2, v5
	v_addc_co_u32_e32 v12, vcc, 0, v16, vcc
	v_lshlrev_b32_e32 v13, 2, v2
	v_mov_b32_e32 v14, v1
	v_mul_lo_u32 v17, s10, v12
	v_mul_lo_u32 v19, s11, v11
	v_mad_u64_u32 v[11:12], s[4:5], s10, v11, v[13:14]
	v_mov_b32_e32 v15, s21
	v_add_co_u32_e32 v9, vcc, s20, v9
	v_addc_co_u32_e32 v10, vcc, v15, v10, vcc
	s_mul_i32 s3, s10, s11
	s_mul_hi_u32 s4, s10, s10
	v_add3_u32 v12, v19, v12, v17
	v_mov_b32_e32 v14, s19
	v_add_co_u32_e32 v11, vcc, s18, v11
	s_add_i32 s4, s4, s3
	v_addc_co_u32_e32 v12, vcc, v14, v12, vcc
	s_add_i32 s3, s4, s3
	s_mul_i32 s4, s10, s10
	s_mul_i32 s5, s4, s13
	s_mul_hi_u32 s8, s4, s12
	v_add_co_u32_e32 v13, vcc, s2, v13
	v_mov_b32_e32 v6, v1
	s_add_i32 s5, s8, s5
	s_mul_i32 s3, s3, s12
	v_addc_co_u32_e32 v16, vcc, 0, v16, vcc
	s_add_i32 s5, s5, s3
	v_lshlrev_b64 v[14:15], 2, v[3:4]
	v_mul_lo_u32 v20, s10, v16
	v_mul_lo_u32 v21, s11, v13
	v_mad_u64_u32 v[16:17], s[2:3], s10, v13, v[5:6]
	v_mov_b32_e32 v19, s21
	v_add_co_u32_e32 v13, vcc, s20, v14
	v_addc_co_u32_e32 v14, vcc, v19, v15, vcc
	v_cmp_gt_i64_e64 s[2:3], s[28:29], 0
	v_add3_u32 v6, v21, v17, v20
	v_mov_b32_e32 v17, s19
	v_add_co_u32_e32 v15, vcc, s18, v16
	v_or_b32_e32 v18, 0x1000, v5
	v_lshlrev_b32_e32 v31, 7, v2
	s_mul_i32 s4, s4, s12
	v_addc_co_u32_e32 v16, vcc, v17, v6, vcc
	v_cndmask_b32_e64 v6, 0, 1, s[2:3]
	s_mov_b64 s[34:35], 0
	s_mov_b32 s7, s9
	s_lshl_b64 s[44:45], s[10:11], 2
	s_lshl_b64 s[46:47], s[10:11], 7
	;; [unrolled: 1-line block ×5, first 2 shown]
	v_add_u32_e32 v32, v18, v31
	v_cmp_ne_u32_e64 s[2:3], 1, v6
	s_branch .LBB1_16
.LBB1_15:                               ;   in Loop: Header=BB1_16 Depth=1
	s_or_b64 exec, exec, s[4:5]
	s_add_u32 s34, s34, 32
	v_mov_b32_e32 v6, s47
	v_add_co_u32_e32 v11, vcc, s46, v11
	v_mov_b32_e32 v18, s11
	s_addc_u32 s35, s35, 0
	v_addc_co_u32_e32 v12, vcc, v12, v6, vcc
	v_mov_b32_e32 v17, s10
	v_add_co_u32_e32 v15, vcc, 0x80, v15
	v_cmp_lt_i64_e64 s[4:5], s[34:35], v[17:18]
	v_addc_co_u32_e32 v16, vcc, 0, v16, vcc
	s_and_b64 vcc, exec, s[4:5]
	s_cbranch_vccz .LBB1_48
.LBB1_16:                               ; =>This Loop Header: Depth=1
                                        ;     Child Loop BB1_19 Depth 2
                                        ;       Child Loop BB1_21 Depth 3
	v_mov_b32_e32 v6, s35
	v_add_co_u32_e32 v17, vcc, s34, v0
	v_addc_co_u32_e32 v18, vcc, 0, v6, vcc
	v_cmp_gt_i64_e64 s[4:5], s[10:11], v[17:18]
	s_and_b64 vcc, exec, s[2:3]
	v_mov_b32_e32 v6, 0
	s_cbranch_vccnz .LBB1_39
; %bb.17:                               ;   in Loop: Header=BB1_16 Depth=1
	v_mov_b32_e32 v20, v16
	v_mov_b32_e32 v22, v12
	s_mov_b64 s[18:19], 0
	v_mov_b32_e32 v6, 0
	v_mov_b32_e32 v19, v15
	;; [unrolled: 1-line block ×3, first 2 shown]
	s_branch .LBB1_19
.LBB1_18:                               ;   in Loop: Header=BB1_19 Depth=2
	v_mov_b32_e32 v23, s49
	v_add_co_u32_e32 v21, vcc, s48, v21
	s_add_u32 s18, s18, 1
	v_addc_co_u32_e32 v22, vcc, v22, v23, vcc
	s_addc_u32 s19, s19, 0
	v_add_co_u32_e32 v19, vcc, s48, v19
	s_cmp_eq_u64 s[18:19], s[28:29]
	v_addc_co_u32_e32 v20, vcc, v20, v23, vcc
	s_cbranch_scc1 .LBB1_39
.LBB1_19:                               ;   Parent Loop BB1_16 Depth=1
                                        ; =>  This Loop Header: Depth=2
                                        ;       Child Loop BB1_21 Depth 3
	s_mul_i32 s8, s18, s13
	s_mul_hi_u32 s9, s18, s12
	s_add_i32 s8, s9, s8
	s_mul_i32 s9, s19, s12
	s_add_i32 s9, s8, s9
	s_mul_i32 s8, s18, s12
	s_add_u32 s8, s8, s6
	s_addc_u32 s9, s9, 0
	s_lshl_b64 s[8:9], s[8:9], 3
	s_add_u32 s8, s16, s8
	s_addc_u32 s9, s17, s9
	s_load_dwordx2 s[8:9], s[8:9], 0x0
	v_mov_b32_e32 v25, s10
	v_mov_b32_e32 v30, v22
	;; [unrolled: 1-line block ×3, first 2 shown]
	s_waitcnt lgkmcnt(0)
	s_sub_u32 s8, s8, s7
	v_mov_b32_e32 v23, s8
	v_mad_u64_u32 v[25:26], s[52:53], s8, v25, v[0:1]
	s_subb_u32 s9, s9, 0
	v_mad_u64_u32 v[23:24], s[52:53], s44, v23, v[9:10]
	s_mul_i32 s54, s45, s8
	v_cmp_gt_i64_e64 s[50:51], s[8:9], -1
	s_mul_i32 s52, s9, s10
	s_mul_i32 s8, s8, s11
	s_add_i32 s8, s8, s52
	v_add_u32_e32 v26, s8, v26
	v_mul_lo_u32 v27, s20, v26
	v_mul_lo_u32 v28, s21, v25
	v_mad_u64_u32 v[25:26], s[52:53], s20, v25, v[13:14]
	s_mul_i32 s8, s44, s9
	s_add_i32 s8, s8, s54
	v_add3_u32 v26, v28, v26, v27
	v_mov_b32_e32 v28, v20
	v_add_u32_e32 v24, s8, v24
	v_mov_b32_e32 v27, v19
	s_mov_b64 s[52:53], 0
	s_branch .LBB1_21
.LBB1_20:                               ;   in Loop: Header=BB1_21 Depth=3
	v_add_co_u32_e32 v23, vcc, 0x80, v23
	v_addc_co_u32_e32 v24, vcc, 0, v24, vcc
	v_add_co_u32_e32 v29, vcc, 0x80, v29
	v_addc_co_u32_e32 v30, vcc, 0, v30, vcc
	v_mov_b32_e32 v33, s23
	v_add_co_u32_e32 v25, vcc, s22, v25
	s_add_u32 s52, s52, 32
	v_addc_co_u32_e32 v26, vcc, v26, v33, vcc
	v_mov_b32_e32 v34, s11
	s_addc_u32 s53, s53, 0
	v_mov_b32_e32 v33, s10
	v_cmp_ge_i64_e32 vcc, s[52:53], v[33:34]
	v_mov_b32_e32 v35, s47
	v_add_co_u32_e64 v27, s[8:9], s46, v27
	v_addc_co_u32_e64 v28, s[8:9], v28, v35, s[8:9]
	s_barrier
	s_cbranch_vccnz .LBB1_18
.LBB1_21:                               ;   Parent Loop BB1_16 Depth=1
                                        ;     Parent Loop BB1_19 Depth=2
                                        ; =>    This Inner Loop Header: Depth=3
	v_mov_b32_e32 v34, s53
	v_add_co_u32_e32 v33, vcc, s52, v0
	v_addc_co_u32_e32 v34, vcc, 0, v34, vcc
	v_cmp_gt_i64_e32 vcc, s[10:11], v[33:34]
	s_mov_b64 s[54:55], -1
	s_and_b64 s[8:9], s[0:1], vcc
	s_and_b64 s[8:9], s[8:9], s[50:51]
	s_and_b64 vcc, exec, s[42:43]
                                        ; implicit-def: $vgpr33
	s_cbranch_vccz .LBB1_25
; %bb.22:                               ;   in Loop: Header=BB1_21 Depth=3
	v_mov_b32_e32 v33, 0
	s_and_saveexec_b64 s[54:55], s[8:9]
	s_cbranch_execz .LBB1_24
; %bb.23:                               ;   in Loop: Header=BB1_21 Depth=3
	global_load_dword v33, v[25:26], off
.LBB1_24:                               ;   in Loop: Header=BB1_21 Depth=3
	s_or_b64 exec, exec, s[54:55]
	s_mov_b64 s[54:55], 0
.LBB1_25:                               ;   in Loop: Header=BB1_21 Depth=3
	s_andn2_b64 vcc, exec, s[54:55]
	s_cbranch_vccnz .LBB1_29
; %bb.26:                               ;   in Loop: Header=BB1_21 Depth=3
	s_waitcnt vmcnt(0)
	v_mov_b32_e32 v33, 0
	s_and_saveexec_b64 s[54:55], s[8:9]
	s_cbranch_execz .LBB1_28
; %bb.27:                               ;   in Loop: Header=BB1_21 Depth=3
	global_load_dword v33, v[23:24], off
.LBB1_28:                               ;   in Loop: Header=BB1_21 Depth=3
	s_or_b64 exec, exec, s[54:55]
.LBB1_29:                               ;   in Loop: Header=BB1_21 Depth=3
	v_mov_b32_e32 v35, s53
	v_add_co_u32_e32 v34, vcc, s52, v2
	v_addc_co_u32_e32 v35, vcc, 0, v35, vcc
	v_cmp_gt_i64_e32 vcc, s[10:11], v[34:35]
	s_waitcnt vmcnt(0)
	ds_write_b32 v32, v33
	s_and_b64 s[8:9], s[4:5], vcc
	s_and_b64 s[8:9], s[8:9], s[50:51]
	s_and_b64 vcc, exec, s[14:15]
	s_cbranch_vccz .LBB1_33
; %bb.30:                               ;   in Loop: Header=BB1_21 Depth=3
	v_mov_b32_e32 v33, 0
	s_and_saveexec_b64 s[54:55], s[8:9]
	s_cbranch_execz .LBB1_32
; %bb.31:                               ;   in Loop: Header=BB1_21 Depth=3
	global_load_dword v33, v[27:28], off
.LBB1_32:                               ;   in Loop: Header=BB1_21 Depth=3
	s_or_b64 exec, exec, s[54:55]
	s_cbranch_execz .LBB1_34
	s_branch .LBB1_37
.LBB1_33:                               ;   in Loop: Header=BB1_21 Depth=3
                                        ; implicit-def: $vgpr33
.LBB1_34:                               ;   in Loop: Header=BB1_21 Depth=3
	s_waitcnt vmcnt(0)
	v_mov_b32_e32 v33, 0
	s_and_saveexec_b64 s[54:55], s[8:9]
	s_cbranch_execz .LBB1_36
; %bb.35:                               ;   in Loop: Header=BB1_21 Depth=3
	global_load_dword v33, v[29:30], off
.LBB1_36:                               ;   in Loop: Header=BB1_21 Depth=3
	s_or_b64 exec, exec, s[54:55]
.LBB1_37:                               ;   in Loop: Header=BB1_21 Depth=3
	v_add_u32_e32 v34, v5, v31
	s_andn2_b64 vcc, exec, s[50:51]
	s_waitcnt vmcnt(0)
	ds_write_b32 v34, v33
	s_waitcnt lgkmcnt(0)
	s_barrier
	s_cbranch_vccnz .LBB1_20
; %bb.38:                               ;   in Loop: Header=BB1_21 Depth=3
	ds_read2_b32 v[41:42], v5 offset1:32
	ds_read_b128 v[33:36], v31 offset:4096
	ds_read2_b32 v[43:44], v5 offset0:64 offset1:96
	ds_read_b128 v[37:40], v31 offset:4112
	s_waitcnt lgkmcnt(2)
	v_mul_lo_u32 v49, v33, v41
	v_mul_lo_u32 v50, v34, v42
	s_waitcnt lgkmcnt(1)
	v_mul_lo_u32 v51, v35, v43
	v_mul_lo_u32 v52, v36, v44
	ds_read2_b32 v[45:46], v5 offset0:128 offset1:160
	ds_read_b128 v[33:36], v31 offset:4128
	ds_read_b128 v[41:44], v31 offset:4144
	ds_read2_b32 v[47:48], v5 offset0:192 offset1:224
	v_add3_u32 v6, v49, v6, v50
	v_add_u32_e32 v49, 0x400, v5
	s_waitcnt lgkmcnt(3)
	v_mul_lo_u32 v45, v37, v45
	v_mul_lo_u32 v46, v38, v46
	ds_read2_b32 v[37:38], v49 offset1:32
	s_waitcnt lgkmcnt(1)
	v_mul_lo_u32 v47, v39, v47
	v_mul_lo_u32 v48, v40, v48
	ds_read2_b32 v[39:40], v49 offset0:64 offset1:96
	v_add3_u32 v6, v6, v51, v52
	v_add3_u32 v6, v6, v45, v46
	ds_read2_b32 v[45:46], v49 offset0:128 offset1:160
	s_waitcnt lgkmcnt(2)
	v_mul_lo_u32 v33, v33, v37
	v_mul_lo_u32 v34, v34, v38
	s_waitcnt lgkmcnt(1)
	v_mul_lo_u32 v35, v35, v39
	v_mul_lo_u32 v36, v36, v40
	v_add3_u32 v6, v6, v47, v48
	v_add3_u32 v6, v6, v33, v34
	v_add_u32_e32 v47, 0x800, v5
	s_waitcnt lgkmcnt(0)
	v_mul_lo_u32 v39, v41, v45
	v_mul_lo_u32 v40, v42, v46
	v_add3_u32 v6, v6, v35, v36
	ds_read2_b32 v[37:38], v49 offset0:192 offset1:224
	ds_read2_b32 v[41:42], v47 offset1:32
	ds_read_b128 v[33:36], v31 offset:4160
	ds_read2_b32 v[45:46], v47 offset0:64 offset1:96
	v_add3_u32 v6, v6, v39, v40
	s_waitcnt lgkmcnt(3)
	v_mul_lo_u32 v43, v43, v37
	v_mul_lo_u32 v44, v44, v38
	ds_read_b128 v[37:40], v31 offset:4176
	s_waitcnt lgkmcnt(2)
	v_mul_lo_u32 v41, v33, v41
	v_mul_lo_u32 v42, v34, v42
	ds_read2_b32 v[33:34], v47 offset0:128 offset1:160
	s_waitcnt lgkmcnt(2)
	v_mul_lo_u32 v45, v35, v45
	v_mul_lo_u32 v46, v36, v46
	ds_read2_b32 v[35:36], v47 offset0:192 offset1:224
	v_add3_u32 v6, v6, v43, v44
	s_waitcnt lgkmcnt(1)
	v_mul_lo_u32 v37, v37, v33
	v_mul_lo_u32 v38, v38, v34
	v_add_u32_e32 v47, 0xc00, v5
	v_add3_u32 v6, v6, v41, v42
	s_waitcnt lgkmcnt(0)
	v_mul_lo_u32 v39, v39, v35
	v_mul_lo_u32 v40, v40, v36
	ds_read2_b32 v[41:42], v47 offset1:32
	ds_read_b128 v[33:36], v31 offset:4192
	v_add3_u32 v6, v6, v45, v46
	v_add3_u32 v6, v6, v37, v38
	;; [unrolled: 1-line block ×3, first 2 shown]
	ds_read2_b32 v[43:44], v47 offset0:64 offset1:96
	ds_read_b128 v[37:40], v31 offset:4208
	ds_read2_b32 v[45:46], v47 offset0:128 offset1:160
	s_waitcnt lgkmcnt(3)
	v_mul_lo_u32 v41, v33, v41
	v_mul_lo_u32 v42, v34, v42
	ds_read2_b32 v[33:34], v47 offset0:192 offset1:224
	s_waitcnt lgkmcnt(3)
	v_mul_lo_u32 v35, v35, v43
	v_mul_lo_u32 v36, v36, v44
	s_waitcnt lgkmcnt(1)
	v_mul_lo_u32 v37, v37, v45
	v_mul_lo_u32 v38, v38, v46
	;; [unrolled: 3-line block ×3, first 2 shown]
	v_add3_u32 v6, v6, v41, v42
	v_add3_u32 v6, v6, v35, v36
	;; [unrolled: 1-line block ×4, first 2 shown]
	s_branch .LBB1_20
.LBB1_39:                               ;   in Loop: Header=BB1_16 Depth=1
	v_mov_b32_e32 v19, s31
	v_add_co_u32_e32 v21, vcc, s30, v17
	v_addc_co_u32_e32 v22, vcc, v18, v19, vcc
	s_mov_b64 s[4:5], -1
	s_and_b64 vcc, exec, s[36:37]
                                        ; implicit-def: $vgpr19_vgpr20
	s_cbranch_vccnz .LBB1_42
; %bb.40:                               ;   in Loop: Header=BB1_16 Depth=1
	s_andn2_b64 vcc, exec, s[4:5]
	s_cbranch_vccz .LBB1_43
.LBB1_41:                               ;   in Loop: Header=BB1_16 Depth=1
	v_cmp_gt_i64_e32 vcc, s[10:11], v[17:18]
	s_and_b64 s[8:9], s[38:39], vcc
	s_and_saveexec_b64 s[4:5], s[8:9]
	s_cbranch_execz .LBB1_15
	s_branch .LBB1_44
.LBB1_42:                               ;   in Loop: Header=BB1_16 Depth=1
	v_mad_u64_u32 v[19:20], s[4:5], v21, s26, v[3:4]
	v_mul_lo_u32 v23, v21, s27
	v_mul_lo_u32 v24, v22, s26
	v_add3_u32 v20, v24, v20, v23
	s_cbranch_execnz .LBB1_41
.LBB1_43:                               ;   in Loop: Header=BB1_16 Depth=1
	v_add_co_u32_e32 v19, vcc, v21, v7
	v_addc_co_u32_e32 v20, vcc, v22, v8, vcc
	v_cmp_gt_i64_e32 vcc, s[10:11], v[17:18]
	s_and_b64 s[8:9], s[38:39], vcc
	s_and_saveexec_b64 s[4:5], s[8:9]
	s_cbranch_execz .LBB1_15
.LBB1_44:                               ;   in Loop: Header=BB1_16 Depth=1
	v_mul_lo_u32 v6, v6, s33
	v_lshlrev_b64 v[17:18], 2, v[19:20]
	s_and_b64 vcc, exec, s[40:41]
	s_cbranch_vccz .LBB1_46
; %bb.45:                               ;   in Loop: Header=BB1_16 Depth=1
	v_mov_b32_e32 v20, s25
	v_add_co_u32_e32 v19, vcc, s24, v17
	v_addc_co_u32_e32 v20, vcc, v20, v18, vcc
	global_load_dword v21, v[19:20], off
	s_waitcnt vmcnt(0)
	v_mad_u64_u32 v[21:22], s[8:9], v21, s56, v[6:7]
	global_store_dword v[19:20], v21, off
	s_cbranch_execnz .LBB1_15
	s_branch .LBB1_47
.LBB1_46:                               ;   in Loop: Header=BB1_16 Depth=1
.LBB1_47:                               ;   in Loop: Header=BB1_16 Depth=1
	v_mov_b32_e32 v19, s25
	v_add_co_u32_e32 v17, vcc, s24, v17
	v_addc_co_u32_e32 v18, vcc, v19, v18, vcc
	global_store_dword v[17:18], v6, off
	s_branch .LBB1_15
.LBB1_48:
	s_endpgm
.LBB1_49:
                                        ; implicit-def: $sgpr28_sgpr29
	s_branch .LBB1_12
	.section	.rodata,"a",@progbits
	.p2align	6, 0x0
	.amdhsa_kernel _ZN9rocsparseL30bellmm_general_blockdim_kernelILi32ELi32EiliiiEEv20rocsparse_operation_S1_20rocsparse_direction_T2_S3_NS_24const_host_device_scalarIT1_EES3_S3_PKS3_PKT3_PKT4_l16rocsparse_order_S6_PT5_lSF_21rocsparse_index_base_b
		.amdhsa_group_segment_fixed_size 8192
		.amdhsa_private_segment_fixed_size 0
		.amdhsa_kernarg_size 132
		.amdhsa_user_sgpr_count 6
		.amdhsa_user_sgpr_private_segment_buffer 1
		.amdhsa_user_sgpr_dispatch_ptr 0
		.amdhsa_user_sgpr_queue_ptr 0
		.amdhsa_user_sgpr_kernarg_segment_ptr 1
		.amdhsa_user_sgpr_dispatch_id 0
		.amdhsa_user_sgpr_flat_scratch_init 0
		.amdhsa_user_sgpr_private_segment_size 0
		.amdhsa_uses_dynamic_stack 0
		.amdhsa_system_sgpr_private_segment_wavefront_offset 0
		.amdhsa_system_sgpr_workgroup_id_x 1
		.amdhsa_system_sgpr_workgroup_id_y 1
		.amdhsa_system_sgpr_workgroup_id_z 0
		.amdhsa_system_sgpr_workgroup_info 0
		.amdhsa_system_vgpr_workitem_id 1
		.amdhsa_next_free_vgpr 53
		.amdhsa_next_free_sgpr 61
		.amdhsa_reserve_vcc 1
		.amdhsa_reserve_flat_scratch 0
		.amdhsa_float_round_mode_32 0
		.amdhsa_float_round_mode_16_64 0
		.amdhsa_float_denorm_mode_32 3
		.amdhsa_float_denorm_mode_16_64 3
		.amdhsa_dx10_clamp 1
		.amdhsa_ieee_mode 1
		.amdhsa_fp16_overflow 0
		.amdhsa_exception_fp_ieee_invalid_op 0
		.amdhsa_exception_fp_denorm_src 0
		.amdhsa_exception_fp_ieee_div_zero 0
		.amdhsa_exception_fp_ieee_overflow 0
		.amdhsa_exception_fp_ieee_underflow 0
		.amdhsa_exception_fp_ieee_inexact 0
		.amdhsa_exception_int_div_zero 0
	.end_amdhsa_kernel
	.section	.text._ZN9rocsparseL30bellmm_general_blockdim_kernelILi32ELi32EiliiiEEv20rocsparse_operation_S1_20rocsparse_direction_T2_S3_NS_24const_host_device_scalarIT1_EES3_S3_PKS3_PKT3_PKT4_l16rocsparse_order_S6_PT5_lSF_21rocsparse_index_base_b,"axG",@progbits,_ZN9rocsparseL30bellmm_general_blockdim_kernelILi32ELi32EiliiiEEv20rocsparse_operation_S1_20rocsparse_direction_T2_S3_NS_24const_host_device_scalarIT1_EES3_S3_PKS3_PKT3_PKT4_l16rocsparse_order_S6_PT5_lSF_21rocsparse_index_base_b,comdat
.Lfunc_end1:
	.size	_ZN9rocsparseL30bellmm_general_blockdim_kernelILi32ELi32EiliiiEEv20rocsparse_operation_S1_20rocsparse_direction_T2_S3_NS_24const_host_device_scalarIT1_EES3_S3_PKS3_PKT3_PKT4_l16rocsparse_order_S6_PT5_lSF_21rocsparse_index_base_b, .Lfunc_end1-_ZN9rocsparseL30bellmm_general_blockdim_kernelILi32ELi32EiliiiEEv20rocsparse_operation_S1_20rocsparse_direction_T2_S3_NS_24const_host_device_scalarIT1_EES3_S3_PKS3_PKT3_PKT4_l16rocsparse_order_S6_PT5_lSF_21rocsparse_index_base_b
                                        ; -- End function
	.set _ZN9rocsparseL30bellmm_general_blockdim_kernelILi32ELi32EiliiiEEv20rocsparse_operation_S1_20rocsparse_direction_T2_S3_NS_24const_host_device_scalarIT1_EES3_S3_PKS3_PKT3_PKT4_l16rocsparse_order_S6_PT5_lSF_21rocsparse_index_base_b.num_vgpr, 53
	.set _ZN9rocsparseL30bellmm_general_blockdim_kernelILi32ELi32EiliiiEEv20rocsparse_operation_S1_20rocsparse_direction_T2_S3_NS_24const_host_device_scalarIT1_EES3_S3_PKS3_PKT3_PKT4_l16rocsparse_order_S6_PT5_lSF_21rocsparse_index_base_b.num_agpr, 0
	.set _ZN9rocsparseL30bellmm_general_blockdim_kernelILi32ELi32EiliiiEEv20rocsparse_operation_S1_20rocsparse_direction_T2_S3_NS_24const_host_device_scalarIT1_EES3_S3_PKS3_PKT3_PKT4_l16rocsparse_order_S6_PT5_lSF_21rocsparse_index_base_b.numbered_sgpr, 57
	.set _ZN9rocsparseL30bellmm_general_blockdim_kernelILi32ELi32EiliiiEEv20rocsparse_operation_S1_20rocsparse_direction_T2_S3_NS_24const_host_device_scalarIT1_EES3_S3_PKS3_PKT3_PKT4_l16rocsparse_order_S6_PT5_lSF_21rocsparse_index_base_b.num_named_barrier, 0
	.set _ZN9rocsparseL30bellmm_general_blockdim_kernelILi32ELi32EiliiiEEv20rocsparse_operation_S1_20rocsparse_direction_T2_S3_NS_24const_host_device_scalarIT1_EES3_S3_PKS3_PKT3_PKT4_l16rocsparse_order_S6_PT5_lSF_21rocsparse_index_base_b.private_seg_size, 0
	.set _ZN9rocsparseL30bellmm_general_blockdim_kernelILi32ELi32EiliiiEEv20rocsparse_operation_S1_20rocsparse_direction_T2_S3_NS_24const_host_device_scalarIT1_EES3_S3_PKS3_PKT3_PKT4_l16rocsparse_order_S6_PT5_lSF_21rocsparse_index_base_b.uses_vcc, 1
	.set _ZN9rocsparseL30bellmm_general_blockdim_kernelILi32ELi32EiliiiEEv20rocsparse_operation_S1_20rocsparse_direction_T2_S3_NS_24const_host_device_scalarIT1_EES3_S3_PKS3_PKT3_PKT4_l16rocsparse_order_S6_PT5_lSF_21rocsparse_index_base_b.uses_flat_scratch, 0
	.set _ZN9rocsparseL30bellmm_general_blockdim_kernelILi32ELi32EiliiiEEv20rocsparse_operation_S1_20rocsparse_direction_T2_S3_NS_24const_host_device_scalarIT1_EES3_S3_PKS3_PKT3_PKT4_l16rocsparse_order_S6_PT5_lSF_21rocsparse_index_base_b.has_dyn_sized_stack, 0
	.set _ZN9rocsparseL30bellmm_general_blockdim_kernelILi32ELi32EiliiiEEv20rocsparse_operation_S1_20rocsparse_direction_T2_S3_NS_24const_host_device_scalarIT1_EES3_S3_PKS3_PKT3_PKT4_l16rocsparse_order_S6_PT5_lSF_21rocsparse_index_base_b.has_recursion, 0
	.set _ZN9rocsparseL30bellmm_general_blockdim_kernelILi32ELi32EiliiiEEv20rocsparse_operation_S1_20rocsparse_direction_T2_S3_NS_24const_host_device_scalarIT1_EES3_S3_PKS3_PKT3_PKT4_l16rocsparse_order_S6_PT5_lSF_21rocsparse_index_base_b.has_indirect_call, 0
	.section	.AMDGPU.csdata,"",@progbits
; Kernel info:
; codeLenInByte = 2916
; TotalNumSgprs: 61
; NumVgprs: 53
; ScratchSize: 0
; MemoryBound: 0
; FloatMode: 240
; IeeeMode: 1
; LDSByteSize: 8192 bytes/workgroup (compile time only)
; SGPRBlocks: 8
; VGPRBlocks: 13
; NumSGPRsForWavesPerEU: 65
; NumVGPRsForWavesPerEU: 53
; Occupancy: 4
; WaveLimiterHint : 1
; COMPUTE_PGM_RSRC2:SCRATCH_EN: 0
; COMPUTE_PGM_RSRC2:USER_SGPR: 6
; COMPUTE_PGM_RSRC2:TRAP_HANDLER: 0
; COMPUTE_PGM_RSRC2:TGID_X_EN: 1
; COMPUTE_PGM_RSRC2:TGID_Y_EN: 1
; COMPUTE_PGM_RSRC2:TGID_Z_EN: 0
; COMPUTE_PGM_RSRC2:TIDIG_COMP_CNT: 1
	.section	.text._ZN9rocsparseL30bellmm_general_blockdim_kernelILi32ELi32EfifffEEv20rocsparse_operation_S1_20rocsparse_direction_T2_S3_NS_24const_host_device_scalarIT1_EES3_S3_PKS3_PKT3_PKT4_l16rocsparse_order_S6_PT5_lSF_21rocsparse_index_base_b,"axG",@progbits,_ZN9rocsparseL30bellmm_general_blockdim_kernelILi32ELi32EfifffEEv20rocsparse_operation_S1_20rocsparse_direction_T2_S3_NS_24const_host_device_scalarIT1_EES3_S3_PKS3_PKT3_PKT4_l16rocsparse_order_S6_PT5_lSF_21rocsparse_index_base_b,comdat
	.globl	_ZN9rocsparseL30bellmm_general_blockdim_kernelILi32ELi32EfifffEEv20rocsparse_operation_S1_20rocsparse_direction_T2_S3_NS_24const_host_device_scalarIT1_EES3_S3_PKS3_PKT3_PKT4_l16rocsparse_order_S6_PT5_lSF_21rocsparse_index_base_b ; -- Begin function _ZN9rocsparseL30bellmm_general_blockdim_kernelILi32ELi32EfifffEEv20rocsparse_operation_S1_20rocsparse_direction_T2_S3_NS_24const_host_device_scalarIT1_EES3_S3_PKS3_PKT3_PKT4_l16rocsparse_order_S6_PT5_lSF_21rocsparse_index_base_b
	.p2align	8
	.type	_ZN9rocsparseL30bellmm_general_blockdim_kernelILi32ELi32EfifffEEv20rocsparse_operation_S1_20rocsparse_direction_T2_S3_NS_24const_host_device_scalarIT1_EES3_S3_PKS3_PKT3_PKT4_l16rocsparse_order_S6_PT5_lSF_21rocsparse_index_base_b,@function
_ZN9rocsparseL30bellmm_general_blockdim_kernelILi32ELi32EfifffEEv20rocsparse_operation_S1_20rocsparse_direction_T2_S3_NS_24const_host_device_scalarIT1_EES3_S3_PKS3_PKT3_PKT4_l16rocsparse_order_S6_PT5_lSF_21rocsparse_index_base_b: ; @_ZN9rocsparseL30bellmm_general_blockdim_kernelILi32ELi32EfifffEEv20rocsparse_operation_S1_20rocsparse_direction_T2_S3_NS_24const_host_device_scalarIT1_EES3_S3_PKS3_PKT3_PKT4_l16rocsparse_order_S6_PT5_lSF_21rocsparse_index_base_b
; %bb.0:
	s_load_dwordx4 s[20:23], s[4:5], 0x68
	s_load_dwordx2 s[28:29], s[4:5], 0x18
	s_load_dwordx2 s[30:31], s[4:5], 0x50
	s_waitcnt lgkmcnt(0)
	s_bitcmp1_b32 s22, 0
	s_cselect_b64 s[2:3], -1, 0
	s_xor_b64 s[0:1], s[2:3], -1
	s_and_b64 vcc, exec, s[2:3]
	s_cbranch_vccnz .LBB2_2
; %bb.1:
	s_load_dword s28, s[28:29], 0x0
.LBB2_2:
	s_andn2_b64 vcc, exec, s[0:1]
	s_cbranch_vccnz .LBB2_4
; %bb.3:
	s_load_dword s30, s[30:31], 0x0
.LBB2_4:
	s_waitcnt lgkmcnt(0)
	v_cmp_eq_f32_e64 s[0:1], s28, 0
	v_cmp_eq_f32_e64 s[2:3], s30, 1.0
	s_and_b64 s[0:1], s[0:1], s[2:3]
	s_mov_b32 s29, 0
	s_and_b64 vcc, exec, s[0:1]
	s_cbranch_vccnz .LBB2_44
; %bb.5:
	s_load_dwordx4 s[8:11], s[4:5], 0x4
	s_load_dwordx2 s[22:23], s[4:5], 0x20
	s_waitcnt lgkmcnt(0)
	s_cmp_lt_i32 s6, s10
	s_cselect_b64 s[2:3], -1, 0
	s_cmp_ge_i32 s6, s10
	s_cbranch_scc1 .LBB2_7
; %bb.6:
	s_abs_i32 s0, s23
	v_cvt_f32_u32_e32 v2, s0
	s_sub_i32 s13, 0, s0
	s_abs_i32 s12, s22
	s_xor_b32 s1, s22, s23
	v_rcp_iflag_f32_e32 v2, v2
	s_ashr_i32 s1, s1, 31
	v_mul_f32_e32 v2, 0x4f7ffffe, v2
	v_cvt_u32_f32_e32 v2, v2
	v_readfirstlane_b32 s14, v2
	s_mul_i32 s13, s13, s14
	s_mul_hi_u32 s13, s14, s13
	s_add_i32 s14, s14, s13
	s_mul_hi_u32 s13, s12, s14
	s_mul_i32 s14, s13, s0
	s_sub_i32 s12, s12, s14
	s_add_i32 s15, s13, 1
	s_sub_i32 s14, s12, s0
	s_cmp_ge_u32 s12, s0
	s_cselect_b32 s13, s15, s13
	s_cselect_b32 s12, s14, s12
	s_add_i32 s14, s13, 1
	s_cmp_ge_u32 s12, s0
	s_cselect_b32 s0, s14, s13
	s_xor_b32 s0, s0, s1
	s_sub_i32 s29, s0, s1
.LBB2_7:
	s_cmp_lt_i32 s23, 1
	s_cbranch_scc1 .LBB2_44
; %bb.8:
	s_load_dwordx8 s[12:19], s[4:5], 0x28
	v_lshl_add_u32 v2, s7, 5, v1
	v_ashrrev_i32_e32 v3, 31, v2
	s_load_dwordx4 s[24:27], s[4:5], 0x58
	s_load_dword s31, s[4:5], 0x48
	s_cmp_gt_i32 s29, 0
	s_waitcnt lgkmcnt(0)
	v_mul_lo_u32 v6, s18, v3
	v_mul_lo_u32 v7, s19, v2
	v_mad_u64_u32 v[4:5], s[0:1], s18, v2, 0
	v_mov_b32_e32 v8, s17
	s_cselect_b64 s[4:5], -1, 0
	v_add3_u32 v5, v5, v6, v7
	v_lshlrev_b64 v[6:7], 2, v[2:3]
	v_lshlrev_b64 v[4:5], 2, v[4:5]
	v_add_co_u32_e32 v10, vcc, s16, v6
	v_addc_co_u32_e32 v11, vcc, v8, v7, vcc
	s_cmpk_eq_i32 s8, 0x6f
	s_cselect_b64 s[40:41], -1, 0
	s_cmp_lg_u32 s31, 1
	v_mov_b32_e32 v7, s17
	v_add_co_u32_e32 v14, vcc, s16, v4
	s_cselect_b64 s[42:43], -1, 0
	v_addc_co_u32_e32 v15, vcc, v7, v5, vcc
	s_cmp_lg_u32 s9, 0
	v_mul_lo_u32 v7, s26, v3
	v_mul_lo_u32 v8, s27, v2
	v_mad_u64_u32 v[4:5], s[8:9], s26, v2, 0
	s_mul_i32 s7, s23, s6
	v_lshlrev_b32_e32 v12, 2, v0
	v_add3_u32 v5, v5, v7, v8
	v_add_u32_e32 v7, s7, v1
	v_mul_lo_u32 v16, s23, v7
	v_cmp_gt_i32_e64 s[0:1], s11, v2
	s_cselect_b64 s[16:17], -1, 0
	s_cmp_lg_u32 s20, 1
	v_or_b32_e32 v6, 0x1000, v12
	v_lshlrev_b32_e32 v13, 7, v1
	s_cselect_b64 s[34:35], -1, 0
	s_and_b64 s[36:37], s[2:3], s[0:1]
	s_xor_b64 s[2:3], s[40:41], s[42:43]
	s_mul_i32 s11, s23, s23
	v_cndmask_b32_e64 v7, 0, 1, s[4:5]
	s_mov_b32 s22, 0
	v_cmp_neq_f32_e64 s[38:39], s30, 0
	s_xor_b64 s[40:41], s[2:3], -1
	s_mul_i32 s11, s11, s10
	s_lshl_b32 s20, s23, 5
	v_cmp_ne_u32_e64 s[2:3], 1, v7
	v_mov_b32_e32 v7, 0
	v_add_u32_e32 v17, v6, v13
	v_add_u32_e32 v18, v12, v13
	;; [unrolled: 1-line block ×3, first 2 shown]
	s_branch .LBB2_10
.LBB2_9:                                ;   in Loop: Header=BB2_10 Depth=1
	s_or_b64 exec, exec, s[4:5]
	s_add_i32 s22, s22, 32
	s_cmp_lt_i32 s22, s23
	v_add_u32_e32 v16, 32, v16
	s_cbranch_scc0 .LBB2_44
.LBB2_10:                               ; =>This Loop Header: Depth=1
                                        ;     Child Loop BB2_13 Depth 2
                                        ;       Child Loop BB2_15 Depth 3
	v_add_u32_e32 v21, s22, v0
	s_and_b64 vcc, exec, s[2:3]
	v_cmp_gt_i32_e64 s[4:5], s23, v21
	v_mov_b32_e32 v20, v7
	s_cbranch_vccnz .LBB2_35
; %bb.11:                               ;   in Loop: Header=BB2_10 Depth=1
	s_mov_b32 s31, 0
	v_mov_b32_e32 v20, 0
	v_mov_b32_e32 v22, v16
	s_branch .LBB2_13
.LBB2_12:                               ;   in Loop: Header=BB2_13 Depth=2
	s_add_i32 s31, s31, 1
	s_cmp_eq_u32 s31, s29
	v_add_u32_e32 v22, s11, v22
	s_cbranch_scc1 .LBB2_35
.LBB2_13:                               ;   Parent Loop BB2_10 Depth=1
                                        ; =>  This Loop Header: Depth=2
                                        ;       Child Loop BB2_15 Depth 3
	s_mul_i32 s8, s31, s10
	s_add_i32 s8, s8, s6
	s_ashr_i32 s9, s8, 31
	s_lshl_b64 s[42:43], s[8:9], 2
	s_add_u32 s42, s12, s42
	s_addc_u32 s43, s13, s43
	s_load_dword s9, s[42:43], 0x0
	s_mul_i32 s8, s8, s23
	v_add_u32_e32 v6, s8, v21
	v_mul_lo_u32 v23, v6, s23
	v_add_u32_e32 v25, v0, v22
	s_waitcnt lgkmcnt(0)
	s_sub_i32 s8, s9, s21
	s_cmp_gt_i32 s8, -1
	s_cselect_b64 s[42:43], -1, 0
	s_mul_i32 s8, s8, s23
	v_cndmask_b32_e64 v6, 0, 1, s[42:43]
	v_add_u32_e32 v24, s8, v0
	v_cmp_ne_u32_e64 s[8:9], 1, v6
	s_mov_b32 s33, 0
	s_mov_b32 s52, 0
	s_branch .LBB2_15
.LBB2_14:                               ;   in Loop: Header=BB2_15 Depth=3
	s_add_i32 s52, s52, 32
	s_add_i32 s33, s33, s20
	s_cmp_ge_i32 s52, s23
	s_barrier
	s_cbranch_scc1 .LBB2_12
.LBB2_15:                               ;   Parent Loop BB2_10 Depth=1
                                        ;     Parent Loop BB2_13 Depth=2
                                        ; =>    This Inner Loop Header: Depth=3
	v_add_u32_e32 v6, s52, v0
	v_cmp_gt_i32_e32 vcc, s23, v6
	s_and_b64 s[44:45], s[0:1], vcc
	s_and_b64 s[44:45], s[44:45], s[42:43]
	s_mov_b64 s[46:47], -1
	s_and_b64 vcc, exec, s[40:41]
                                        ; implicit-def: $vgpr8
	s_cbranch_vccz .LBB2_19
; %bb.16:                               ;   in Loop: Header=BB2_15 Depth=3
	v_mov_b32_e32 v8, 0
	s_and_saveexec_b64 s[46:47], s[44:45]
	s_cbranch_execz .LBB2_18
; %bb.17:                               ;   in Loop: Header=BB2_15 Depth=3
	v_add_u32_e32 v26, s52, v24
	v_mad_u64_u32 v[8:9], s[48:49], s18, v26, 0
	v_mov_b32_e32 v6, v9
	v_mad_u64_u32 v[26:27], s[48:49], s19, v26, v[6:7]
	v_mov_b32_e32 v9, v26
	v_lshlrev_b64 v[8:9], 2, v[8:9]
	v_add_co_u32_e32 v8, vcc, v10, v8
	v_addc_co_u32_e32 v9, vcc, v11, v9, vcc
	global_load_dword v8, v[8:9], off
.LBB2_18:                               ;   in Loop: Header=BB2_15 Depth=3
	s_or_b64 exec, exec, s[46:47]
	s_mov_b64 s[46:47], 0
.LBB2_19:                               ;   in Loop: Header=BB2_15 Depth=3
	s_andn2_b64 vcc, exec, s[46:47]
	s_cbranch_vccnz .LBB2_23
; %bb.20:                               ;   in Loop: Header=BB2_15 Depth=3
	s_waitcnt vmcnt(0)
	v_mov_b32_e32 v8, 0
	s_and_saveexec_b64 s[46:47], s[44:45]
	s_cbranch_execz .LBB2_22
; %bb.21:                               ;   in Loop: Header=BB2_15 Depth=3
	v_add_u32_e32 v6, s52, v24
	v_lshlrev_b64 v[8:9], 2, v[6:7]
	v_add_co_u32_e32 v8, vcc, v14, v8
	v_addc_co_u32_e32 v9, vcc, v15, v9, vcc
	global_load_dword v8, v[8:9], off
.LBB2_22:                               ;   in Loop: Header=BB2_15 Depth=3
	s_or_b64 exec, exec, s[46:47]
.LBB2_23:                               ;   in Loop: Header=BB2_15 Depth=3
	v_add_u32_e32 v6, s52, v1
	v_cmp_gt_i32_e32 vcc, s23, v6
	s_and_b64 s[44:45], s[4:5], vcc
	s_and_b64 s[46:47], s[44:45], s[42:43]
	s_and_b64 vcc, exec, s[16:17]
	s_waitcnt vmcnt(0)
	ds_write_b32 v17, v8
	s_cbranch_vccz .LBB2_31
; %bb.24:                               ;   in Loop: Header=BB2_15 Depth=3
	s_mov_b64 s[48:49], 0
	s_mov_b64 s[44:45], 0
                                        ; implicit-def: $vgpr8
	s_and_saveexec_b64 s[50:51], s[46:47]
	s_xor_b64 s[50:51], exec, s[50:51]
; %bb.25:                               ;   in Loop: Header=BB2_15 Depth=3
	s_mov_b64 s[44:45], exec
	v_add_u32_e32 v8, s33, v25
; %bb.26:                               ;   in Loop: Header=BB2_15 Depth=3
	s_or_b64 exec, exec, s[50:51]
	s_and_b64 vcc, exec, s[48:49]
	s_cbranch_vccnz .LBB2_32
.LBB2_27:                               ;   in Loop: Header=BB2_15 Depth=3
	v_mov_b32_e32 v6, 0
	s_and_saveexec_b64 s[46:47], s[44:45]
	s_cbranch_execz .LBB2_29
.LBB2_28:                               ;   in Loop: Header=BB2_15 Depth=3
	v_ashrrev_i32_e32 v9, 31, v8
	v_lshlrev_b64 v[8:9], 2, v[8:9]
	v_mov_b32_e32 v6, s15
	v_add_co_u32_e32 v8, vcc, s14, v8
	v_addc_co_u32_e32 v9, vcc, v6, v9, vcc
	global_load_dword v6, v[8:9], off
.LBB2_29:                               ;   in Loop: Header=BB2_15 Depth=3
	s_or_b64 exec, exec, s[46:47]
	s_and_b64 vcc, exec, s[8:9]
	s_waitcnt vmcnt(0)
	ds_write_b32 v18, v6
	s_waitcnt lgkmcnt(0)
	s_barrier
	s_cbranch_vccnz .LBB2_14
; %bb.30:                               ;   in Loop: Header=BB2_15 Depth=3
	ds_read2_b32 v[8:9], v12 offset1:32
	ds_read_b128 v[26:29], v13 offset:4096
	ds_read_b128 v[30:33], v13 offset:4112
	ds_read2_b32 v[42:43], v12 offset0:64 offset1:96
	ds_read_b128 v[34:37], v13 offset:4128
	ds_read_b128 v[38:41], v13 offset:4144
	ds_read2_b32 v[44:45], v12 offset0:128 offset1:160
	s_waitcnt lgkmcnt(5)
	v_fmac_f32_e32 v20, v8, v26
	v_fmac_f32_e32 v20, v9, v27
	ds_read2_b32 v[8:9], v12 offset0:192 offset1:224
	s_waitcnt lgkmcnt(4)
	v_fmac_f32_e32 v20, v42, v28
	v_fmac_f32_e32 v20, v43, v29
	s_waitcnt lgkmcnt(1)
	v_fmac_f32_e32 v20, v44, v30
	ds_read2_b32 v[26:27], v19 offset1:32
	v_fmac_f32_e32 v20, v45, v31
	s_waitcnt lgkmcnt(1)
	v_fmac_f32_e32 v20, v8, v32
	v_fmac_f32_e32 v20, v9, v33
	ds_read2_b32 v[8:9], v19 offset0:64 offset1:96
	ds_read2_b32 v[28:29], v19 offset0:128 offset1:160
	s_waitcnt lgkmcnt(2)
	v_fmac_f32_e32 v20, v26, v34
	v_fmac_f32_e32 v20, v27, v35
	ds_read2_b32 v[30:31], v19 offset0:192 offset1:224
	s_waitcnt lgkmcnt(2)
	v_fmac_f32_e32 v20, v8, v36
	v_fmac_f32_e32 v20, v9, v37
	s_waitcnt lgkmcnt(1)
	v_fmac_f32_e32 v20, v28, v38
	v_add_u32_e32 v6, 0x800, v12
	v_fmac_f32_e32 v20, v29, v39
	ds_read2_b32 v[8:9], v6 offset1:32
	ds_read_b128 v[26:29], v13 offset:4160
	s_waitcnt lgkmcnt(2)
	v_fmac_f32_e32 v20, v30, v40
	v_fmac_f32_e32 v20, v31, v41
	ds_read2_b32 v[34:35], v6 offset0:64 offset1:96
	ds_read2_b32 v[36:37], v6 offset0:128 offset1:160
	ds_read_b128 v[30:33], v13 offset:4176
	s_waitcnt lgkmcnt(3)
	v_fmac_f32_e32 v20, v8, v26
	v_fmac_f32_e32 v20, v9, v27
	ds_read2_b32 v[8:9], v6 offset0:192 offset1:224
	s_waitcnt lgkmcnt(3)
	v_fmac_f32_e32 v20, v34, v28
	v_fmac_f32_e32 v20, v35, v29
	v_add_u32_e32 v6, 0xc00, v12
	s_waitcnt lgkmcnt(1)
	v_fmac_f32_e32 v20, v36, v30
	ds_read2_b32 v[34:35], v6 offset1:32
	ds_read_b128 v[26:29], v13 offset:4192
	v_fmac_f32_e32 v20, v37, v31
	s_waitcnt lgkmcnt(2)
	v_fmac_f32_e32 v20, v8, v32
	v_fmac_f32_e32 v20, v9, v33
	ds_read2_b32 v[8:9], v6 offset0:64 offset1:96
	ds_read_b128 v[30:33], v13 offset:4208
	ds_read2_b32 v[36:37], v6 offset0:128 offset1:160
	s_waitcnt lgkmcnt(3)
	v_fmac_f32_e32 v20, v34, v26
	v_fmac_f32_e32 v20, v35, v27
	ds_read2_b32 v[26:27], v6 offset0:192 offset1:224
	s_waitcnt lgkmcnt(3)
	v_fmac_f32_e32 v20, v8, v28
	v_fmac_f32_e32 v20, v9, v29
	s_waitcnt lgkmcnt(1)
	v_fmac_f32_e32 v20, v36, v30
	v_fmac_f32_e32 v20, v37, v31
	;; [unrolled: 3-line block ×3, first 2 shown]
	s_branch .LBB2_14
.LBB2_31:                               ;   in Loop: Header=BB2_15 Depth=3
	s_mov_b64 s[44:45], 0
                                        ; implicit-def: $vgpr8
	s_cbranch_execz .LBB2_27
.LBB2_32:                               ;   in Loop: Header=BB2_15 Depth=3
                                        ; implicit-def: $vgpr8
	s_and_saveexec_b64 s[48:49], s[46:47]
; %bb.33:                               ;   in Loop: Header=BB2_15 Depth=3
	v_add_u32_e32 v8, v6, v23
	s_or_b64 s[44:45], s[44:45], exec
; %bb.34:                               ;   in Loop: Header=BB2_15 Depth=3
	s_or_b64 exec, exec, s[48:49]
	v_mov_b32_e32 v6, 0
	s_and_saveexec_b64 s[46:47], s[44:45]
	s_cbranch_execnz .LBB2_28
	s_branch .LBB2_29
.LBB2_35:                               ;   in Loop: Header=BB2_10 Depth=1
	v_add_u32_e32 v6, s7, v21
	v_ashrrev_i32_e32 v22, 31, v6
	s_mov_b64 s[4:5], -1
	s_and_b64 vcc, exec, s[34:35]
                                        ; implicit-def: $vgpr8_vgpr9
	s_cbranch_vccnz .LBB2_38
; %bb.36:                               ;   in Loop: Header=BB2_10 Depth=1
	s_andn2_b64 vcc, exec, s[4:5]
	s_cbranch_vccz .LBB2_39
.LBB2_37:                               ;   in Loop: Header=BB2_10 Depth=1
	v_cmp_gt_i32_e32 vcc, s23, v21
	s_and_b64 s[8:9], s[36:37], vcc
	s_and_saveexec_b64 s[4:5], s[8:9]
	s_cbranch_execz .LBB2_9
	s_branch .LBB2_40
.LBB2_38:                               ;   in Loop: Header=BB2_10 Depth=1
	v_mad_u64_u32 v[8:9], s[4:5], s26, v6, v[2:3]
	v_mul_lo_u32 v23, s26, v22
	v_mul_lo_u32 v24, s27, v6
	v_add3_u32 v9, v24, v9, v23
	s_cbranch_execnz .LBB2_37
.LBB2_39:                               ;   in Loop: Header=BB2_10 Depth=1
	v_add_co_u32_e32 v8, vcc, v4, v6
	v_addc_co_u32_e32 v9, vcc, v5, v22, vcc
	v_cmp_gt_i32_e32 vcc, s23, v21
	s_and_b64 s[8:9], s[36:37], vcc
	s_and_saveexec_b64 s[4:5], s[8:9]
	s_cbranch_execz .LBB2_9
.LBB2_40:                               ;   in Loop: Header=BB2_10 Depth=1
	v_lshlrev_b64 v[8:9], 2, v[8:9]
	s_and_b64 vcc, exec, s[38:39]
	v_mul_f32_e32 v6, s28, v20
	s_cbranch_vccz .LBB2_42
; %bb.41:                               ;   in Loop: Header=BB2_10 Depth=1
	v_mov_b32_e32 v21, s25
	v_add_co_u32_e32 v20, vcc, s24, v8
	v_addc_co_u32_e32 v21, vcc, v21, v9, vcc
	global_load_dword v22, v[20:21], off
	s_waitcnt vmcnt(0)
	v_fma_f32 v22, s30, v22, v6
	global_store_dword v[20:21], v22, off
	s_cbranch_execnz .LBB2_9
	s_branch .LBB2_43
.LBB2_42:                               ;   in Loop: Header=BB2_10 Depth=1
.LBB2_43:                               ;   in Loop: Header=BB2_10 Depth=1
	v_mov_b32_e32 v20, s25
	v_add_co_u32_e32 v8, vcc, s24, v8
	v_addc_co_u32_e32 v9, vcc, v20, v9, vcc
	global_store_dword v[8:9], v6, off
	s_branch .LBB2_9
.LBB2_44:
	s_endpgm
	.section	.rodata,"a",@progbits
	.p2align	6, 0x0
	.amdhsa_kernel _ZN9rocsparseL30bellmm_general_blockdim_kernelILi32ELi32EfifffEEv20rocsparse_operation_S1_20rocsparse_direction_T2_S3_NS_24const_host_device_scalarIT1_EES3_S3_PKS3_PKT3_PKT4_l16rocsparse_order_S6_PT5_lSF_21rocsparse_index_base_b
		.amdhsa_group_segment_fixed_size 8192
		.amdhsa_private_segment_fixed_size 0
		.amdhsa_kernarg_size 116
		.amdhsa_user_sgpr_count 6
		.amdhsa_user_sgpr_private_segment_buffer 1
		.amdhsa_user_sgpr_dispatch_ptr 0
		.amdhsa_user_sgpr_queue_ptr 0
		.amdhsa_user_sgpr_kernarg_segment_ptr 1
		.amdhsa_user_sgpr_dispatch_id 0
		.amdhsa_user_sgpr_flat_scratch_init 0
		.amdhsa_user_sgpr_private_segment_size 0
		.amdhsa_uses_dynamic_stack 0
		.amdhsa_system_sgpr_private_segment_wavefront_offset 0
		.amdhsa_system_sgpr_workgroup_id_x 1
		.amdhsa_system_sgpr_workgroup_id_y 1
		.amdhsa_system_sgpr_workgroup_id_z 0
		.amdhsa_system_sgpr_workgroup_info 0
		.amdhsa_system_vgpr_workitem_id 1
		.amdhsa_next_free_vgpr 46
		.amdhsa_next_free_sgpr 61
		.amdhsa_reserve_vcc 1
		.amdhsa_reserve_flat_scratch 0
		.amdhsa_float_round_mode_32 0
		.amdhsa_float_round_mode_16_64 0
		.amdhsa_float_denorm_mode_32 3
		.amdhsa_float_denorm_mode_16_64 3
		.amdhsa_dx10_clamp 1
		.amdhsa_ieee_mode 1
		.amdhsa_fp16_overflow 0
		.amdhsa_exception_fp_ieee_invalid_op 0
		.amdhsa_exception_fp_denorm_src 0
		.amdhsa_exception_fp_ieee_div_zero 0
		.amdhsa_exception_fp_ieee_overflow 0
		.amdhsa_exception_fp_ieee_underflow 0
		.amdhsa_exception_fp_ieee_inexact 0
		.amdhsa_exception_int_div_zero 0
	.end_amdhsa_kernel
	.section	.text._ZN9rocsparseL30bellmm_general_blockdim_kernelILi32ELi32EfifffEEv20rocsparse_operation_S1_20rocsparse_direction_T2_S3_NS_24const_host_device_scalarIT1_EES3_S3_PKS3_PKT3_PKT4_l16rocsparse_order_S6_PT5_lSF_21rocsparse_index_base_b,"axG",@progbits,_ZN9rocsparseL30bellmm_general_blockdim_kernelILi32ELi32EfifffEEv20rocsparse_operation_S1_20rocsparse_direction_T2_S3_NS_24const_host_device_scalarIT1_EES3_S3_PKS3_PKT3_PKT4_l16rocsparse_order_S6_PT5_lSF_21rocsparse_index_base_b,comdat
.Lfunc_end2:
	.size	_ZN9rocsparseL30bellmm_general_blockdim_kernelILi32ELi32EfifffEEv20rocsparse_operation_S1_20rocsparse_direction_T2_S3_NS_24const_host_device_scalarIT1_EES3_S3_PKS3_PKT3_PKT4_l16rocsparse_order_S6_PT5_lSF_21rocsparse_index_base_b, .Lfunc_end2-_ZN9rocsparseL30bellmm_general_blockdim_kernelILi32ELi32EfifffEEv20rocsparse_operation_S1_20rocsparse_direction_T2_S3_NS_24const_host_device_scalarIT1_EES3_S3_PKS3_PKT3_PKT4_l16rocsparse_order_S6_PT5_lSF_21rocsparse_index_base_b
                                        ; -- End function
	.set _ZN9rocsparseL30bellmm_general_blockdim_kernelILi32ELi32EfifffEEv20rocsparse_operation_S1_20rocsparse_direction_T2_S3_NS_24const_host_device_scalarIT1_EES3_S3_PKS3_PKT3_PKT4_l16rocsparse_order_S6_PT5_lSF_21rocsparse_index_base_b.num_vgpr, 46
	.set _ZN9rocsparseL30bellmm_general_blockdim_kernelILi32ELi32EfifffEEv20rocsparse_operation_S1_20rocsparse_direction_T2_S3_NS_24const_host_device_scalarIT1_EES3_S3_PKS3_PKT3_PKT4_l16rocsparse_order_S6_PT5_lSF_21rocsparse_index_base_b.num_agpr, 0
	.set _ZN9rocsparseL30bellmm_general_blockdim_kernelILi32ELi32EfifffEEv20rocsparse_operation_S1_20rocsparse_direction_T2_S3_NS_24const_host_device_scalarIT1_EES3_S3_PKS3_PKT3_PKT4_l16rocsparse_order_S6_PT5_lSF_21rocsparse_index_base_b.numbered_sgpr, 53
	.set _ZN9rocsparseL30bellmm_general_blockdim_kernelILi32ELi32EfifffEEv20rocsparse_operation_S1_20rocsparse_direction_T2_S3_NS_24const_host_device_scalarIT1_EES3_S3_PKS3_PKT3_PKT4_l16rocsparse_order_S6_PT5_lSF_21rocsparse_index_base_b.num_named_barrier, 0
	.set _ZN9rocsparseL30bellmm_general_blockdim_kernelILi32ELi32EfifffEEv20rocsparse_operation_S1_20rocsparse_direction_T2_S3_NS_24const_host_device_scalarIT1_EES3_S3_PKS3_PKT3_PKT4_l16rocsparse_order_S6_PT5_lSF_21rocsparse_index_base_b.private_seg_size, 0
	.set _ZN9rocsparseL30bellmm_general_blockdim_kernelILi32ELi32EfifffEEv20rocsparse_operation_S1_20rocsparse_direction_T2_S3_NS_24const_host_device_scalarIT1_EES3_S3_PKS3_PKT3_PKT4_l16rocsparse_order_S6_PT5_lSF_21rocsparse_index_base_b.uses_vcc, 1
	.set _ZN9rocsparseL30bellmm_general_blockdim_kernelILi32ELi32EfifffEEv20rocsparse_operation_S1_20rocsparse_direction_T2_S3_NS_24const_host_device_scalarIT1_EES3_S3_PKS3_PKT3_PKT4_l16rocsparse_order_S6_PT5_lSF_21rocsparse_index_base_b.uses_flat_scratch, 0
	.set _ZN9rocsparseL30bellmm_general_blockdim_kernelILi32ELi32EfifffEEv20rocsparse_operation_S1_20rocsparse_direction_T2_S3_NS_24const_host_device_scalarIT1_EES3_S3_PKS3_PKT3_PKT4_l16rocsparse_order_S6_PT5_lSF_21rocsparse_index_base_b.has_dyn_sized_stack, 0
	.set _ZN9rocsparseL30bellmm_general_blockdim_kernelILi32ELi32EfifffEEv20rocsparse_operation_S1_20rocsparse_direction_T2_S3_NS_24const_host_device_scalarIT1_EES3_S3_PKS3_PKT3_PKT4_l16rocsparse_order_S6_PT5_lSF_21rocsparse_index_base_b.has_recursion, 0
	.set _ZN9rocsparseL30bellmm_general_blockdim_kernelILi32ELi32EfifffEEv20rocsparse_operation_S1_20rocsparse_direction_T2_S3_NS_24const_host_device_scalarIT1_EES3_S3_PKS3_PKT3_PKT4_l16rocsparse_order_S6_PT5_lSF_21rocsparse_index_base_b.has_indirect_call, 0
	.section	.AMDGPU.csdata,"",@progbits
; Kernel info:
; codeLenInByte = 1712
; TotalNumSgprs: 57
; NumVgprs: 46
; ScratchSize: 0
; MemoryBound: 0
; FloatMode: 240
; IeeeMode: 1
; LDSByteSize: 8192 bytes/workgroup (compile time only)
; SGPRBlocks: 8
; VGPRBlocks: 11
; NumSGPRsForWavesPerEU: 65
; NumVGPRsForWavesPerEU: 46
; Occupancy: 5
; WaveLimiterHint : 1
; COMPUTE_PGM_RSRC2:SCRATCH_EN: 0
; COMPUTE_PGM_RSRC2:USER_SGPR: 6
; COMPUTE_PGM_RSRC2:TRAP_HANDLER: 0
; COMPUTE_PGM_RSRC2:TGID_X_EN: 1
; COMPUTE_PGM_RSRC2:TGID_Y_EN: 1
; COMPUTE_PGM_RSRC2:TGID_Z_EN: 0
; COMPUTE_PGM_RSRC2:TIDIG_COMP_CNT: 1
	.section	.text._ZN9rocsparseL30bellmm_general_blockdim_kernelILi32ELi32EflfffEEv20rocsparse_operation_S1_20rocsparse_direction_T2_S3_NS_24const_host_device_scalarIT1_EES3_S3_PKS3_PKT3_PKT4_l16rocsparse_order_S6_PT5_lSF_21rocsparse_index_base_b,"axG",@progbits,_ZN9rocsparseL30bellmm_general_blockdim_kernelILi32ELi32EflfffEEv20rocsparse_operation_S1_20rocsparse_direction_T2_S3_NS_24const_host_device_scalarIT1_EES3_S3_PKS3_PKT3_PKT4_l16rocsparse_order_S6_PT5_lSF_21rocsparse_index_base_b,comdat
	.globl	_ZN9rocsparseL30bellmm_general_blockdim_kernelILi32ELi32EflfffEEv20rocsparse_operation_S1_20rocsparse_direction_T2_S3_NS_24const_host_device_scalarIT1_EES3_S3_PKS3_PKT3_PKT4_l16rocsparse_order_S6_PT5_lSF_21rocsparse_index_base_b ; -- Begin function _ZN9rocsparseL30bellmm_general_blockdim_kernelILi32ELi32EflfffEEv20rocsparse_operation_S1_20rocsparse_direction_T2_S3_NS_24const_host_device_scalarIT1_EES3_S3_PKS3_PKT3_PKT4_l16rocsparse_order_S6_PT5_lSF_21rocsparse_index_base_b
	.p2align	8
	.type	_ZN9rocsparseL30bellmm_general_blockdim_kernelILi32ELi32EflfffEEv20rocsparse_operation_S1_20rocsparse_direction_T2_S3_NS_24const_host_device_scalarIT1_EES3_S3_PKS3_PKT3_PKT4_l16rocsparse_order_S6_PT5_lSF_21rocsparse_index_base_b,@function
_ZN9rocsparseL30bellmm_general_blockdim_kernelILi32ELi32EflfffEEv20rocsparse_operation_S1_20rocsparse_direction_T2_S3_NS_24const_host_device_scalarIT1_EES3_S3_PKS3_PKT3_PKT4_l16rocsparse_order_S6_PT5_lSF_21rocsparse_index_base_b: ; @_ZN9rocsparseL30bellmm_general_blockdim_kernelILi32ELi32EflfffEEv20rocsparse_operation_S1_20rocsparse_direction_T2_S3_NS_24const_host_device_scalarIT1_EES3_S3_PKS3_PKT3_PKT4_l16rocsparse_order_S6_PT5_lSF_21rocsparse_index_base_b
; %bb.0:
	s_load_dwordx4 s[8:11], s[4:5], 0x78
	s_load_dwordx8 s[12:19], s[4:5], 0x10
	s_load_dwordx2 s[34:35], s[4:5], 0x60
	s_mov_b32 s0, s7
	v_mov_b32_e32 v2, v1
	s_waitcnt lgkmcnt(0)
	s_bitcmp1_b32 s10, 0
	s_cselect_b64 s[10:11], -1, 0
	s_xor_b64 s[2:3], s[10:11], -1
	s_and_b64 vcc, exec, s[10:11]
	s_cbranch_vccnz .LBB3_2
; %bb.1:
	s_load_dword s16, s[16:17], 0x0
.LBB3_2:
	s_andn2_b64 vcc, exec, s[2:3]
	s_cbranch_vccnz .LBB3_4
; %bb.3:
	s_load_dword s34, s[34:35], 0x0
.LBB3_4:
	s_waitcnt lgkmcnt(0)
	v_cmp_eq_f32_e64 s[2:3], s16, 0
	v_cmp_eq_f32_e64 s[10:11], s34, 1.0
	s_and_b64 s[2:3], s[2:3], s[10:11]
	s_mov_b32 s7, 0
	s_and_b64 vcc, exec, s[2:3]
	s_cbranch_vccnz .LBB3_44
; %bb.5:
	s_load_dwordx2 s[10:11], s[4:5], 0x30
	v_mov_b32_e32 v3, s6
	v_mov_b32_e32 v4, s7
	v_cmp_le_i64_e32 vcc, s[12:13], v[3:4]
	v_cmp_gt_i64_e64 s[2:3], s[12:13], v[3:4]
	s_mov_b64 s[36:37], 0
	s_cbranch_vccnz .LBB3_9
; %bb.6:
	s_waitcnt lgkmcnt(0)
	s_or_b64 s[20:21], s[18:19], s[10:11]
	s_mov_b32 s20, 0
	s_cmp_lg_u64 s[20:21], 0
	s_cbranch_scc0 .LBB3_45
; %bb.7:
	s_ashr_i32 s20, s11, 31
	s_add_u32 s22, s10, s20
	s_mov_b32 s21, s20
	s_addc_u32 s23, s11, s20
	s_xor_b64 s[24:25], s[22:23], s[20:21]
	v_cvt_f32_u32_e32 v1, s24
	v_cvt_f32_u32_e32 v3, s25
	s_sub_u32 s1, 0, s24
	s_subb_u32 s7, 0, s25
	v_madmk_f32 v1, v3, 0x4f800000, v1
	v_rcp_f32_e32 v1, v1
	v_mul_f32_e32 v1, 0x5f7ffffc, v1
	v_mul_f32_e32 v3, 0x2f800000, v1
	v_trunc_f32_e32 v3, v3
	v_madmk_f32 v1, v3, 0xcf800000, v1
	v_cvt_u32_f32_e32 v3, v3
	v_cvt_u32_f32_e32 v1, v1
	v_readfirstlane_b32 s17, v3
	v_readfirstlane_b32 s26, v1
	s_mul_i32 s27, s1, s17
	s_mul_hi_u32 s29, s1, s26
	s_mul_i32 s28, s7, s26
	s_add_i32 s27, s29, s27
	s_add_i32 s27, s27, s28
	s_mul_i32 s30, s1, s26
	s_mul_i32 s29, s26, s27
	s_mul_hi_u32 s31, s26, s30
	s_mul_hi_u32 s28, s26, s27
	s_add_u32 s29, s31, s29
	s_addc_u32 s28, 0, s28
	s_mul_hi_u32 s33, s17, s30
	s_mul_i32 s30, s17, s30
	s_add_u32 s29, s29, s30
	s_mul_hi_u32 s31, s17, s27
	s_addc_u32 s28, s28, s33
	s_addc_u32 s29, s31, 0
	s_mul_i32 s27, s17, s27
	s_add_u32 s27, s28, s27
	s_addc_u32 s28, 0, s29
	s_add_u32 s29, s26, s27
	s_cselect_b64 s[26:27], -1, 0
	s_cmp_lg_u64 s[26:27], 0
	s_addc_u32 s17, s17, s28
	s_mul_i32 s26, s1, s17
	s_mul_hi_u32 s27, s1, s29
	s_add_i32 s26, s27, s26
	s_mul_i32 s7, s7, s29
	s_add_i32 s26, s26, s7
	s_mul_i32 s1, s1, s29
	s_mul_hi_u32 s27, s17, s1
	s_mul_i32 s28, s17, s1
	s_mul_i32 s31, s29, s26
	s_mul_hi_u32 s1, s29, s1
	s_mul_hi_u32 s30, s29, s26
	s_add_u32 s1, s1, s31
	s_addc_u32 s30, 0, s30
	s_add_u32 s1, s1, s28
	s_mul_hi_u32 s7, s17, s26
	s_addc_u32 s1, s30, s27
	s_addc_u32 s7, s7, 0
	s_mul_i32 s26, s17, s26
	s_add_u32 s1, s1, s26
	s_addc_u32 s7, 0, s7
	s_add_u32 s1, s29, s1
	s_cselect_b64 s[26:27], -1, 0
	s_cmp_lg_u64 s[26:27], 0
	s_addc_u32 s7, s17, s7
	s_ashr_i32 s26, s19, 31
	s_add_u32 s28, s18, s26
	s_mov_b32 s27, s26
	s_addc_u32 s29, s19, s26
	s_xor_b64 s[28:29], s[28:29], s[26:27]
	s_mul_i32 s19, s28, s7
	s_mul_hi_u32 s30, s28, s1
	s_mul_hi_u32 s17, s28, s7
	s_add_u32 s19, s30, s19
	s_addc_u32 s17, 0, s17
	s_mul_hi_u32 s31, s29, s1
	s_mul_i32 s1, s29, s1
	s_add_u32 s1, s19, s1
	s_mul_hi_u32 s30, s29, s7
	s_addc_u32 s1, s17, s31
	s_addc_u32 s17, s30, 0
	s_mul_i32 s7, s29, s7
	s_add_u32 s1, s1, s7
	s_addc_u32 s7, 0, s17
	s_mul_i32 s17, s24, s7
	s_mul_hi_u32 s19, s24, s1
	s_add_i32 s17, s19, s17
	s_mul_i32 s19, s25, s1
	s_add_i32 s17, s17, s19
	s_sub_i32 s19, s29, s17
	s_mul_i32 s30, s24, s1
	s_sub_u32 s28, s28, s30
	s_cselect_b64 s[30:31], -1, 0
	s_cmp_lg_u64 s[30:31], 0
	s_subb_u32 s19, s19, s25
	s_sub_u32 s33, s28, s24
	s_cselect_b64 s[36:37], -1, 0
	s_cmp_lg_u64 s[36:37], 0
	s_subb_u32 s19, s19, 0
	s_cmp_ge_u32 s19, s25
	s_cselect_b32 s35, -1, 0
	s_cmp_ge_u32 s33, s24
	s_cselect_b32 s33, -1, 0
	s_cmp_eq_u32 s19, s25
	s_cselect_b32 s19, s33, s35
	s_add_u32 s33, s1, 1
	s_addc_u32 s35, s7, 0
	s_add_u32 s36, s1, 2
	s_addc_u32 s37, s7, 0
	s_cmp_lg_u32 s19, 0
	s_cselect_b32 s19, s36, s33
	s_cselect_b32 s33, s37, s35
	s_cmp_lg_u64 s[30:31], 0
	s_subb_u32 s17, s29, s17
	s_cmp_ge_u32 s17, s25
	s_cselect_b32 s29, -1, 0
	s_cmp_ge_u32 s28, s24
	s_cselect_b32 s24, -1, 0
	s_cmp_eq_u32 s17, s25
	s_cselect_b32 s17, s24, s29
	s_cmp_lg_u32 s17, 0
	s_cselect_b32 s25, s33, s7
	s_cselect_b32 s24, s19, s1
	s_xor_b64 s[20:21], s[26:27], s[20:21]
	s_xor_b64 s[24:25], s[24:25], s[20:21]
	s_sub_u32 s36, s24, s20
	s_subb_u32 s37, s25, s21
	s_cbranch_execnz .LBB3_9
.LBB3_8:
	v_cvt_f32_u32_e32 v1, s10
	s_sub_i32 s1, 0, s10
	s_mov_b32 s37, 0
	v_rcp_iflag_f32_e32 v1, v1
	v_mul_f32_e32 v1, 0x4f7ffffe, v1
	v_cvt_u32_f32_e32 v1, v1
	v_readfirstlane_b32 s7, v1
	s_mul_i32 s1, s1, s7
	s_mul_hi_u32 s1, s7, s1
	s_add_i32 s7, s7, s1
	s_mul_hi_u32 s1, s18, s7
	s_mul_i32 s17, s1, s10
	s_sub_i32 s17, s18, s17
	s_add_i32 s7, s1, 1
	s_sub_i32 s18, s17, s10
	s_cmp_ge_u32 s17, s10
	s_cselect_b32 s1, s7, s1
	s_cselect_b32 s17, s18, s17
	s_add_i32 s7, s1, 1
	s_cmp_ge_u32 s17, s10
	s_cselect_b32 s36, s7, s1
.LBB3_9:
	s_waitcnt lgkmcnt(0)
	v_cmp_lt_i64_e64 s[18:19], s[10:11], 1
	s_and_b64 vcc, exec, s[18:19]
	s_cbranch_vccnz .LBB3_44
; %bb.10:
	s_lshl_b32 s0, s0, 5
	v_add_co_u32_e32 v3, vcc, s0, v2
	s_load_dwordx2 s[40:41], s[4:5], 0x4
	s_load_dwordx4 s[28:31], s[4:5], 0x68
	s_load_dword s17, s[4:5], 0x58
	v_addc_co_u32_e64 v4, s[0:1], 0, 0, vcc
	s_mul_i32 s0, s11, s6
	s_mul_hi_u32 s1, s10, s6
	s_load_dwordx8 s[20:27], s[4:5], 0x38
	s_add_i32 s19, s1, s0
	v_cmp_gt_i64_e64 s[0:1], s[14:15], v[3:4]
	s_waitcnt lgkmcnt(0)
	s_cmpk_eq_i32 s40, 0x6f
	v_mul_lo_u32 v6, s31, v3
	v_mul_lo_u32 v9, s30, v4
	v_mad_u64_u32 v[7:8], s[14:15], s30, v3, 0
	s_cselect_b64 s[4:5], -1, 0
	s_cmp_lg_u32 s17, 1
	s_cselect_b64 s[46:47], -1, 0
	s_cmp_lg_u32 s41, 0
	;; [unrolled: 2-line block ×3, first 2 shown]
	s_cselect_b64 s[40:41], -1, 0
	v_add3_u32 v8, v8, v9, v6
	s_and_b64 s[42:43], s[2:3], s[0:1]
	v_mul_lo_u32 v6, s27, v3
	v_mul_lo_u32 v11, s26, v4
	v_mad_u64_u32 v[9:10], s[2:3], s26, v3, 0
	v_lshlrev_b32_e32 v5, 2, v0
	s_mul_i32 s18, s10, s6
	v_add3_u32 v10, v10, v11, v6
	v_lshlrev_b64 v[9:10], 2, v[9:10]
	s_xor_b64 s[2:3], s[4:5], s[46:47]
	v_add_co_u32_e32 v9, vcc, v9, v5
	s_xor_b64 s[46:47], s[2:3], -1
	v_addc_co_u32_e32 v10, vcc, 0, v10, vcc
	s_lshl_b64 s[2:3], s[18:19], 2
	v_mov_b32_e32 v1, 0
	v_mov_b32_e32 v16, s3
	v_add_co_u32_e32 v11, vcc, s2, v5
	v_addc_co_u32_e32 v12, vcc, 0, v16, vcc
	v_lshlrev_b32_e32 v13, 2, v2
	v_mov_b32_e32 v14, v1
	v_mul_lo_u32 v17, s10, v12
	v_mul_lo_u32 v19, s11, v11
	v_mad_u64_u32 v[11:12], s[4:5], s10, v11, v[13:14]
	v_mov_b32_e32 v15, s25
	v_add_co_u32_e32 v9, vcc, s24, v9
	v_addc_co_u32_e32 v10, vcc, v15, v10, vcc
	s_mul_i32 s3, s10, s11
	s_mul_hi_u32 s4, s10, s10
	v_add3_u32 v12, v19, v12, v17
	v_mov_b32_e32 v14, s23
	v_add_co_u32_e32 v11, vcc, s22, v11
	s_add_i32 s4, s4, s3
	v_addc_co_u32_e32 v12, vcc, v14, v12, vcc
	s_add_i32 s3, s4, s3
	s_mul_i32 s4, s10, s10
	s_mul_i32 s5, s4, s13
	s_mul_hi_u32 s8, s4, s12
	v_add_co_u32_e32 v13, vcc, s2, v13
	v_mov_b32_e32 v6, v1
	s_add_i32 s5, s8, s5
	s_mul_i32 s3, s3, s12
	v_addc_co_u32_e32 v16, vcc, 0, v16, vcc
	s_add_i32 s5, s5, s3
	v_lshlrev_b64 v[14:15], 2, v[3:4]
	v_mul_lo_u32 v20, s10, v16
	v_mul_lo_u32 v21, s11, v13
	v_mad_u64_u32 v[16:17], s[2:3], s10, v13, v[5:6]
	v_mov_b32_e32 v19, s25
	v_add_co_u32_e32 v13, vcc, s24, v14
	v_addc_co_u32_e32 v14, vcc, v19, v15, vcc
	v_cmp_gt_i64_e64 s[2:3], s[36:37], 0
	v_add3_u32 v6, v21, v17, v20
	v_mov_b32_e32 v17, s23
	v_add_co_u32_e32 v15, vcc, s22, v16
	v_or_b32_e32 v18, 0x1000, v5
	v_lshlrev_b32_e32 v31, 7, v2
	s_mul_i32 s4, s4, s12
	v_addc_co_u32_e32 v16, vcc, v17, v6, vcc
	v_cndmask_b32_e64 v17, 0, 1, s[2:3]
	s_mov_b64 s[38:39], 0
	s_mov_b32 s7, s9
	v_cmp_neq_f32_e64 s[44:45], s34, 0
	s_lshl_b64 s[48:49], s[10:11], 2
	s_lshl_b64 s[50:51], s[10:11], 7
	;; [unrolled: 1-line block ×5, first 2 shown]
	v_add_u32_e32 v6, v18, v31
	v_cmp_ne_u32_e64 s[2:3], 1, v17
	s_branch .LBB3_12
.LBB3_11:                               ;   in Loop: Header=BB3_12 Depth=1
	s_or_b64 exec, exec, s[4:5]
	v_mov_b32_e32 v17, s51
	v_add_co_u32_e32 v11, vcc, s50, v11
	s_add_u32 s38, s38, 32
	v_addc_co_u32_e32 v12, vcc, v12, v17, vcc
	v_mov_b32_e32 v18, s11
	s_addc_u32 s39, s39, 0
	v_mov_b32_e32 v17, s10
	v_add_co_u32_e32 v15, vcc, 0x80, v15
	v_cmp_lt_i64_e64 s[4:5], s[38:39], v[17:18]
	v_addc_co_u32_e32 v16, vcc, 0, v16, vcc
	s_and_b64 vcc, exec, s[4:5]
	s_cbranch_vccz .LBB3_44
.LBB3_12:                               ; =>This Loop Header: Depth=1
                                        ;     Child Loop BB3_15 Depth 2
                                        ;       Child Loop BB3_17 Depth 3
	v_mov_b32_e32 v18, s39
	v_add_co_u32_e32 v17, vcc, s38, v0
	v_addc_co_u32_e32 v18, vcc, 0, v18, vcc
	v_cmp_gt_i64_e64 s[4:5], s[10:11], v[17:18]
	s_and_b64 vcc, exec, s[2:3]
	v_mov_b32_e32 v32, 0
	s_cbranch_vccnz .LBB3_35
; %bb.13:                               ;   in Loop: Header=BB3_12 Depth=1
	v_mov_b32_e32 v20, v16
	v_mov_b32_e32 v22, v12
	s_mov_b64 s[22:23], 0
	v_mov_b32_e32 v32, 0
	v_mov_b32_e32 v19, v15
	v_mov_b32_e32 v21, v11
	s_branch .LBB3_15
.LBB3_14:                               ;   in Loop: Header=BB3_15 Depth=2
	v_mov_b32_e32 v23, s53
	v_add_co_u32_e32 v21, vcc, s52, v21
	s_add_u32 s22, s22, 1
	v_addc_co_u32_e32 v22, vcc, v22, v23, vcc
	s_addc_u32 s23, s23, 0
	v_add_co_u32_e32 v19, vcc, s52, v19
	s_cmp_eq_u64 s[22:23], s[36:37]
	v_addc_co_u32_e32 v20, vcc, v20, v23, vcc
	s_cbranch_scc1 .LBB3_35
.LBB3_15:                               ;   Parent Loop BB3_12 Depth=1
                                        ; =>  This Loop Header: Depth=2
                                        ;       Child Loop BB3_17 Depth 3
	s_mul_i32 s8, s22, s13
	s_mul_hi_u32 s9, s22, s12
	s_add_i32 s8, s9, s8
	s_mul_i32 s9, s23, s12
	s_add_i32 s9, s8, s9
	s_mul_i32 s8, s22, s12
	s_add_u32 s8, s8, s6
	s_addc_u32 s9, s9, 0
	s_lshl_b64 s[8:9], s[8:9], 3
	s_add_u32 s8, s20, s8
	s_addc_u32 s9, s21, s9
	s_load_dwordx2 s[8:9], s[8:9], 0x0
	v_mov_b32_e32 v25, s10
	v_mov_b32_e32 v30, v22
	;; [unrolled: 1-line block ×3, first 2 shown]
	s_waitcnt lgkmcnt(0)
	s_sub_u32 s8, s8, s7
	v_mad_u64_u32 v[25:26], s[56:57], s8, v25, v[0:1]
	s_subb_u32 s9, s9, 0
	s_mul_i32 s17, s49, s8
	v_cmp_gt_i64_e64 s[54:55], s[8:9], -1
	v_mov_b32_e32 v23, s8
	s_mul_i32 s33, s9, s10
	s_mul_i32 s8, s8, s11
	s_add_i32 s8, s8, s33
	v_add_u32_e32 v26, s8, v26
	v_mul_lo_u32 v27, s24, v26
	v_mul_lo_u32 v28, s25, v25
	v_mad_u64_u32 v[25:26], s[56:57], s24, v25, v[13:14]
	v_mad_u64_u32 v[23:24], s[56:57], s48, v23, v[9:10]
	s_mul_i32 s8, s48, s9
	s_add_i32 s8, s8, s17
	v_add3_u32 v26, v28, v26, v27
	v_mov_b32_e32 v28, v20
	v_add_u32_e32 v24, s8, v24
	v_mov_b32_e32 v27, v19
	s_mov_b64 s[56:57], 0
	s_branch .LBB3_17
.LBB3_16:                               ;   in Loop: Header=BB3_17 Depth=3
	v_add_co_u32_e32 v23, vcc, 0x80, v23
	v_addc_co_u32_e32 v24, vcc, 0, v24, vcc
	v_add_co_u32_e32 v29, vcc, 0x80, v29
	v_addc_co_u32_e32 v30, vcc, 0, v30, vcc
	v_mov_b32_e32 v33, s27
	v_add_co_u32_e32 v25, vcc, s26, v25
	s_add_u32 s56, s56, 32
	v_addc_co_u32_e32 v26, vcc, v26, v33, vcc
	v_mov_b32_e32 v34, s11
	s_addc_u32 s57, s57, 0
	v_mov_b32_e32 v33, s10
	v_cmp_ge_i64_e32 vcc, s[56:57], v[33:34]
	v_mov_b32_e32 v35, s51
	v_add_co_u32_e64 v27, s[8:9], s50, v27
	v_addc_co_u32_e64 v28, s[8:9], v28, v35, s[8:9]
	s_barrier
	s_cbranch_vccnz .LBB3_14
.LBB3_17:                               ;   Parent Loop BB3_12 Depth=1
                                        ;     Parent Loop BB3_15 Depth=2
                                        ; =>    This Inner Loop Header: Depth=3
	v_mov_b32_e32 v34, s57
	v_add_co_u32_e32 v33, vcc, s56, v0
	v_addc_co_u32_e32 v34, vcc, 0, v34, vcc
	v_cmp_gt_i64_e32 vcc, s[10:11], v[33:34]
	s_mov_b64 s[58:59], -1
	s_and_b64 s[8:9], s[0:1], vcc
	s_and_b64 s[8:9], s[8:9], s[54:55]
	s_and_b64 vcc, exec, s[46:47]
                                        ; implicit-def: $vgpr33
	s_cbranch_vccz .LBB3_21
; %bb.18:                               ;   in Loop: Header=BB3_17 Depth=3
	v_mov_b32_e32 v33, 0
	s_and_saveexec_b64 s[58:59], s[8:9]
	s_cbranch_execz .LBB3_20
; %bb.19:                               ;   in Loop: Header=BB3_17 Depth=3
	global_load_dword v33, v[25:26], off
.LBB3_20:                               ;   in Loop: Header=BB3_17 Depth=3
	s_or_b64 exec, exec, s[58:59]
	s_mov_b64 s[58:59], 0
.LBB3_21:                               ;   in Loop: Header=BB3_17 Depth=3
	s_andn2_b64 vcc, exec, s[58:59]
	s_cbranch_vccnz .LBB3_25
; %bb.22:                               ;   in Loop: Header=BB3_17 Depth=3
	s_waitcnt vmcnt(0)
	v_mov_b32_e32 v33, 0
	s_and_saveexec_b64 s[58:59], s[8:9]
	s_cbranch_execz .LBB3_24
; %bb.23:                               ;   in Loop: Header=BB3_17 Depth=3
	global_load_dword v33, v[23:24], off
.LBB3_24:                               ;   in Loop: Header=BB3_17 Depth=3
	s_or_b64 exec, exec, s[58:59]
.LBB3_25:                               ;   in Loop: Header=BB3_17 Depth=3
	v_mov_b32_e32 v35, s57
	v_add_co_u32_e32 v34, vcc, s56, v2
	v_addc_co_u32_e32 v35, vcc, 0, v35, vcc
	v_cmp_gt_i64_e32 vcc, s[10:11], v[34:35]
	s_waitcnt vmcnt(0)
	ds_write_b32 v6, v33
	s_and_b64 s[8:9], s[4:5], vcc
	s_and_b64 s[8:9], s[8:9], s[54:55]
	s_and_b64 vcc, exec, s[14:15]
	s_cbranch_vccz .LBB3_29
; %bb.26:                               ;   in Loop: Header=BB3_17 Depth=3
	v_mov_b32_e32 v33, 0
	s_and_saveexec_b64 s[58:59], s[8:9]
	s_cbranch_execz .LBB3_28
; %bb.27:                               ;   in Loop: Header=BB3_17 Depth=3
	global_load_dword v33, v[27:28], off
.LBB3_28:                               ;   in Loop: Header=BB3_17 Depth=3
	s_or_b64 exec, exec, s[58:59]
	s_cbranch_execz .LBB3_30
	s_branch .LBB3_33
.LBB3_29:                               ;   in Loop: Header=BB3_17 Depth=3
                                        ; implicit-def: $vgpr33
.LBB3_30:                               ;   in Loop: Header=BB3_17 Depth=3
	s_waitcnt vmcnt(0)
	v_mov_b32_e32 v33, 0
	s_and_saveexec_b64 s[58:59], s[8:9]
	s_cbranch_execz .LBB3_32
; %bb.31:                               ;   in Loop: Header=BB3_17 Depth=3
	global_load_dword v33, v[29:30], off
.LBB3_32:                               ;   in Loop: Header=BB3_17 Depth=3
	s_or_b64 exec, exec, s[58:59]
.LBB3_33:                               ;   in Loop: Header=BB3_17 Depth=3
	v_add_u32_e32 v34, v5, v31
	s_andn2_b64 vcc, exec, s[54:55]
	s_waitcnt vmcnt(0)
	ds_write_b32 v34, v33
	s_waitcnt lgkmcnt(0)
	s_barrier
	s_cbranch_vccnz .LBB3_16
; %bb.34:                               ;   in Loop: Header=BB3_17 Depth=3
	ds_read2_b32 v[49:50], v5 offset1:32
	ds_read_b128 v[33:36], v31 offset:4096
	ds_read_b128 v[37:40], v31 offset:4112
	ds_read2_b32 v[51:52], v5 offset0:64 offset1:96
	ds_read_b128 v[41:44], v31 offset:4128
	ds_read_b128 v[45:48], v31 offset:4144
	ds_read2_b32 v[53:54], v5 offset0:128 offset1:160
	s_waitcnt lgkmcnt(5)
	v_fmac_f32_e32 v32, v49, v33
	v_fmac_f32_e32 v32, v50, v34
	ds_read2_b32 v[33:34], v5 offset0:192 offset1:224
	s_waitcnt lgkmcnt(4)
	v_fmac_f32_e32 v32, v51, v35
	v_fmac_f32_e32 v32, v52, v36
	s_waitcnt lgkmcnt(1)
	v_fmac_f32_e32 v32, v53, v37
	v_add_u32_e32 v49, 0x400, v5
	ds_read2_b32 v[35:36], v49 offset1:32
	v_fmac_f32_e32 v32, v54, v38
	s_waitcnt lgkmcnt(1)
	v_fmac_f32_e32 v32, v33, v39
	v_fmac_f32_e32 v32, v34, v40
	ds_read2_b32 v[33:34], v49 offset0:64 offset1:96
	ds_read2_b32 v[37:38], v49 offset0:128 offset1:160
	s_waitcnt lgkmcnt(2)
	v_fmac_f32_e32 v32, v35, v41
	v_fmac_f32_e32 v32, v36, v42
	ds_read2_b32 v[39:40], v49 offset0:192 offset1:224
	s_waitcnt lgkmcnt(2)
	v_fmac_f32_e32 v32, v33, v43
	v_fmac_f32_e32 v32, v34, v44
	s_waitcnt lgkmcnt(1)
	v_fmac_f32_e32 v32, v37, v45
	v_fmac_f32_e32 v32, v38, v46
	s_waitcnt lgkmcnt(0)
	v_fmac_f32_e32 v32, v39, v47
	v_add_u32_e32 v47, 0x800, v5
	ds_read2_b32 v[41:42], v47 offset1:32
	ds_read_b128 v[33:36], v31 offset:4160
	v_fmac_f32_e32 v32, v40, v48
	ds_read2_b32 v[43:44], v47 offset0:64 offset1:96
	ds_read2_b32 v[45:46], v47 offset0:128 offset1:160
	ds_read_b128 v[37:40], v31 offset:4176
	s_waitcnt lgkmcnt(3)
	v_fmac_f32_e32 v32, v41, v33
	v_fmac_f32_e32 v32, v42, v34
	ds_read2_b32 v[41:42], v47 offset0:192 offset1:224
	s_waitcnt lgkmcnt(3)
	v_fmac_f32_e32 v32, v43, v35
	v_fmac_f32_e32 v32, v44, v36
	v_add_u32_e32 v47, 0xc00, v5
	s_waitcnt lgkmcnt(1)
	v_fmac_f32_e32 v32, v45, v37
	ds_read2_b32 v[43:44], v47 offset1:32
	ds_read_b128 v[33:36], v31 offset:4192
	v_fmac_f32_e32 v32, v46, v38
	s_waitcnt lgkmcnt(2)
	v_fmac_f32_e32 v32, v41, v39
	v_fmac_f32_e32 v32, v42, v40
	ds_read2_b32 v[41:42], v47 offset0:64 offset1:96
	ds_read_b128 v[37:40], v31 offset:4208
	ds_read2_b32 v[45:46], v47 offset0:128 offset1:160
	s_waitcnt lgkmcnt(3)
	v_fmac_f32_e32 v32, v43, v33
	v_fmac_f32_e32 v32, v44, v34
	ds_read2_b32 v[33:34], v47 offset0:192 offset1:224
	s_waitcnt lgkmcnt(3)
	v_fmac_f32_e32 v32, v41, v35
	v_fmac_f32_e32 v32, v42, v36
	s_waitcnt lgkmcnt(1)
	v_fmac_f32_e32 v32, v45, v37
	v_fmac_f32_e32 v32, v46, v38
	;; [unrolled: 3-line block ×3, first 2 shown]
	s_branch .LBB3_16
.LBB3_35:                               ;   in Loop: Header=BB3_12 Depth=1
	v_mov_b32_e32 v19, s19
	v_add_co_u32_e32 v21, vcc, s18, v17
	v_addc_co_u32_e32 v22, vcc, v18, v19, vcc
	s_mov_b64 s[4:5], -1
	s_and_b64 vcc, exec, s[40:41]
                                        ; implicit-def: $vgpr19_vgpr20
	s_cbranch_vccnz .LBB3_38
; %bb.36:                               ;   in Loop: Header=BB3_12 Depth=1
	s_andn2_b64 vcc, exec, s[4:5]
	s_cbranch_vccz .LBB3_39
.LBB3_37:                               ;   in Loop: Header=BB3_12 Depth=1
	v_cmp_gt_i64_e32 vcc, s[10:11], v[17:18]
	s_and_b64 s[8:9], s[42:43], vcc
	s_and_saveexec_b64 s[4:5], s[8:9]
	s_cbranch_execz .LBB3_11
	s_branch .LBB3_40
.LBB3_38:                               ;   in Loop: Header=BB3_12 Depth=1
	v_mad_u64_u32 v[19:20], s[4:5], v21, s30, v[3:4]
	v_mul_lo_u32 v23, v21, s31
	v_mul_lo_u32 v24, v22, s30
	v_add3_u32 v20, v24, v20, v23
	s_cbranch_execnz .LBB3_37
.LBB3_39:                               ;   in Loop: Header=BB3_12 Depth=1
	v_add_co_u32_e32 v19, vcc, v21, v7
	v_addc_co_u32_e32 v20, vcc, v22, v8, vcc
	v_cmp_gt_i64_e32 vcc, s[10:11], v[17:18]
	s_and_b64 s[8:9], s[42:43], vcc
	s_and_saveexec_b64 s[4:5], s[8:9]
	s_cbranch_execz .LBB3_11
.LBB3_40:                               ;   in Loop: Header=BB3_12 Depth=1
	v_lshlrev_b64 v[17:18], 2, v[19:20]
	s_and_b64 vcc, exec, s[44:45]
	v_mul_f32_e32 v19, s16, v32
	s_cbranch_vccz .LBB3_42
; %bb.41:                               ;   in Loop: Header=BB3_12 Depth=1
	v_mov_b32_e32 v21, s29
	v_add_co_u32_e32 v20, vcc, s28, v17
	v_addc_co_u32_e32 v21, vcc, v21, v18, vcc
	global_load_dword v22, v[20:21], off
	s_waitcnt vmcnt(0)
	v_fma_f32 v22, s34, v22, v19
	global_store_dword v[20:21], v22, off
	s_cbranch_execnz .LBB3_11
	s_branch .LBB3_43
.LBB3_42:                               ;   in Loop: Header=BB3_12 Depth=1
.LBB3_43:                               ;   in Loop: Header=BB3_12 Depth=1
	v_mov_b32_e32 v20, s29
	v_add_co_u32_e32 v17, vcc, s28, v17
	v_addc_co_u32_e32 v18, vcc, v20, v18, vcc
	global_store_dword v[17:18], v19, off
	s_branch .LBB3_11
.LBB3_44:
	s_endpgm
.LBB3_45:
                                        ; implicit-def: $sgpr36_sgpr37
	s_branch .LBB3_8
	.section	.rodata,"a",@progbits
	.p2align	6, 0x0
	.amdhsa_kernel _ZN9rocsparseL30bellmm_general_blockdim_kernelILi32ELi32EflfffEEv20rocsparse_operation_S1_20rocsparse_direction_T2_S3_NS_24const_host_device_scalarIT1_EES3_S3_PKS3_PKT3_PKT4_l16rocsparse_order_S6_PT5_lSF_21rocsparse_index_base_b
		.amdhsa_group_segment_fixed_size 8192
		.amdhsa_private_segment_fixed_size 0
		.amdhsa_kernarg_size 132
		.amdhsa_user_sgpr_count 6
		.amdhsa_user_sgpr_private_segment_buffer 1
		.amdhsa_user_sgpr_dispatch_ptr 0
		.amdhsa_user_sgpr_queue_ptr 0
		.amdhsa_user_sgpr_kernarg_segment_ptr 1
		.amdhsa_user_sgpr_dispatch_id 0
		.amdhsa_user_sgpr_flat_scratch_init 0
		.amdhsa_user_sgpr_private_segment_size 0
		.amdhsa_uses_dynamic_stack 0
		.amdhsa_system_sgpr_private_segment_wavefront_offset 0
		.amdhsa_system_sgpr_workgroup_id_x 1
		.amdhsa_system_sgpr_workgroup_id_y 1
		.amdhsa_system_sgpr_workgroup_id_z 0
		.amdhsa_system_sgpr_workgroup_info 0
		.amdhsa_system_vgpr_workitem_id 1
		.amdhsa_next_free_vgpr 55
		.amdhsa_next_free_sgpr 61
		.amdhsa_reserve_vcc 1
		.amdhsa_reserve_flat_scratch 0
		.amdhsa_float_round_mode_32 0
		.amdhsa_float_round_mode_16_64 0
		.amdhsa_float_denorm_mode_32 3
		.amdhsa_float_denorm_mode_16_64 3
		.amdhsa_dx10_clamp 1
		.amdhsa_ieee_mode 1
		.amdhsa_fp16_overflow 0
		.amdhsa_exception_fp_ieee_invalid_op 0
		.amdhsa_exception_fp_denorm_src 0
		.amdhsa_exception_fp_ieee_div_zero 0
		.amdhsa_exception_fp_ieee_overflow 0
		.amdhsa_exception_fp_ieee_underflow 0
		.amdhsa_exception_fp_ieee_inexact 0
		.amdhsa_exception_int_div_zero 0
	.end_amdhsa_kernel
	.section	.text._ZN9rocsparseL30bellmm_general_blockdim_kernelILi32ELi32EflfffEEv20rocsparse_operation_S1_20rocsparse_direction_T2_S3_NS_24const_host_device_scalarIT1_EES3_S3_PKS3_PKT3_PKT4_l16rocsparse_order_S6_PT5_lSF_21rocsparse_index_base_b,"axG",@progbits,_ZN9rocsparseL30bellmm_general_blockdim_kernelILi32ELi32EflfffEEv20rocsparse_operation_S1_20rocsparse_direction_T2_S3_NS_24const_host_device_scalarIT1_EES3_S3_PKS3_PKT3_PKT4_l16rocsparse_order_S6_PT5_lSF_21rocsparse_index_base_b,comdat
.Lfunc_end3:
	.size	_ZN9rocsparseL30bellmm_general_blockdim_kernelILi32ELi32EflfffEEv20rocsparse_operation_S1_20rocsparse_direction_T2_S3_NS_24const_host_device_scalarIT1_EES3_S3_PKS3_PKT3_PKT4_l16rocsparse_order_S6_PT5_lSF_21rocsparse_index_base_b, .Lfunc_end3-_ZN9rocsparseL30bellmm_general_blockdim_kernelILi32ELi32EflfffEEv20rocsparse_operation_S1_20rocsparse_direction_T2_S3_NS_24const_host_device_scalarIT1_EES3_S3_PKS3_PKT3_PKT4_l16rocsparse_order_S6_PT5_lSF_21rocsparse_index_base_b
                                        ; -- End function
	.set _ZN9rocsparseL30bellmm_general_blockdim_kernelILi32ELi32EflfffEEv20rocsparse_operation_S1_20rocsparse_direction_T2_S3_NS_24const_host_device_scalarIT1_EES3_S3_PKS3_PKT3_PKT4_l16rocsparse_order_S6_PT5_lSF_21rocsparse_index_base_b.num_vgpr, 55
	.set _ZN9rocsparseL30bellmm_general_blockdim_kernelILi32ELi32EflfffEEv20rocsparse_operation_S1_20rocsparse_direction_T2_S3_NS_24const_host_device_scalarIT1_EES3_S3_PKS3_PKT3_PKT4_l16rocsparse_order_S6_PT5_lSF_21rocsparse_index_base_b.num_agpr, 0
	.set _ZN9rocsparseL30bellmm_general_blockdim_kernelILi32ELi32EflfffEEv20rocsparse_operation_S1_20rocsparse_direction_T2_S3_NS_24const_host_device_scalarIT1_EES3_S3_PKS3_PKT3_PKT4_l16rocsparse_order_S6_PT5_lSF_21rocsparse_index_base_b.numbered_sgpr, 60
	.set _ZN9rocsparseL30bellmm_general_blockdim_kernelILi32ELi32EflfffEEv20rocsparse_operation_S1_20rocsparse_direction_T2_S3_NS_24const_host_device_scalarIT1_EES3_S3_PKS3_PKT3_PKT4_l16rocsparse_order_S6_PT5_lSF_21rocsparse_index_base_b.num_named_barrier, 0
	.set _ZN9rocsparseL30bellmm_general_blockdim_kernelILi32ELi32EflfffEEv20rocsparse_operation_S1_20rocsparse_direction_T2_S3_NS_24const_host_device_scalarIT1_EES3_S3_PKS3_PKT3_PKT4_l16rocsparse_order_S6_PT5_lSF_21rocsparse_index_base_b.private_seg_size, 0
	.set _ZN9rocsparseL30bellmm_general_blockdim_kernelILi32ELi32EflfffEEv20rocsparse_operation_S1_20rocsparse_direction_T2_S3_NS_24const_host_device_scalarIT1_EES3_S3_PKS3_PKT3_PKT4_l16rocsparse_order_S6_PT5_lSF_21rocsparse_index_base_b.uses_vcc, 1
	.set _ZN9rocsparseL30bellmm_general_blockdim_kernelILi32ELi32EflfffEEv20rocsparse_operation_S1_20rocsparse_direction_T2_S3_NS_24const_host_device_scalarIT1_EES3_S3_PKS3_PKT3_PKT4_l16rocsparse_order_S6_PT5_lSF_21rocsparse_index_base_b.uses_flat_scratch, 0
	.set _ZN9rocsparseL30bellmm_general_blockdim_kernelILi32ELi32EflfffEEv20rocsparse_operation_S1_20rocsparse_direction_T2_S3_NS_24const_host_device_scalarIT1_EES3_S3_PKS3_PKT3_PKT4_l16rocsparse_order_S6_PT5_lSF_21rocsparse_index_base_b.has_dyn_sized_stack, 0
	.set _ZN9rocsparseL30bellmm_general_blockdim_kernelILi32ELi32EflfffEEv20rocsparse_operation_S1_20rocsparse_direction_T2_S3_NS_24const_host_device_scalarIT1_EES3_S3_PKS3_PKT3_PKT4_l16rocsparse_order_S6_PT5_lSF_21rocsparse_index_base_b.has_recursion, 0
	.set _ZN9rocsparseL30bellmm_general_blockdim_kernelILi32ELi32EflfffEEv20rocsparse_operation_S1_20rocsparse_direction_T2_S3_NS_24const_host_device_scalarIT1_EES3_S3_PKS3_PKT3_PKT4_l16rocsparse_order_S6_PT5_lSF_21rocsparse_index_base_b.has_indirect_call, 0
	.section	.AMDGPU.csdata,"",@progbits
; Kernel info:
; codeLenInByte = 2596
; TotalNumSgprs: 64
; NumVgprs: 55
; ScratchSize: 0
; MemoryBound: 0
; FloatMode: 240
; IeeeMode: 1
; LDSByteSize: 8192 bytes/workgroup (compile time only)
; SGPRBlocks: 8
; VGPRBlocks: 13
; NumSGPRsForWavesPerEU: 65
; NumVGPRsForWavesPerEU: 55
; Occupancy: 4
; WaveLimiterHint : 1
; COMPUTE_PGM_RSRC2:SCRATCH_EN: 0
; COMPUTE_PGM_RSRC2:USER_SGPR: 6
; COMPUTE_PGM_RSRC2:TRAP_HANDLER: 0
; COMPUTE_PGM_RSRC2:TGID_X_EN: 1
; COMPUTE_PGM_RSRC2:TGID_Y_EN: 1
; COMPUTE_PGM_RSRC2:TGID_Z_EN: 0
; COMPUTE_PGM_RSRC2:TIDIG_COMP_CNT: 1
	.section	.text._ZN9rocsparseL30bellmm_general_blockdim_kernelILi32ELi32EdidddEEv20rocsparse_operation_S1_20rocsparse_direction_T2_S3_NS_24const_host_device_scalarIT1_EES3_S3_PKS3_PKT3_PKT4_l16rocsparse_order_S6_PT5_lSF_21rocsparse_index_base_b,"axG",@progbits,_ZN9rocsparseL30bellmm_general_blockdim_kernelILi32ELi32EdidddEEv20rocsparse_operation_S1_20rocsparse_direction_T2_S3_NS_24const_host_device_scalarIT1_EES3_S3_PKS3_PKT3_PKT4_l16rocsparse_order_S6_PT5_lSF_21rocsparse_index_base_b,comdat
	.globl	_ZN9rocsparseL30bellmm_general_blockdim_kernelILi32ELi32EdidddEEv20rocsparse_operation_S1_20rocsparse_direction_T2_S3_NS_24const_host_device_scalarIT1_EES3_S3_PKS3_PKT3_PKT4_l16rocsparse_order_S6_PT5_lSF_21rocsparse_index_base_b ; -- Begin function _ZN9rocsparseL30bellmm_general_blockdim_kernelILi32ELi32EdidddEEv20rocsparse_operation_S1_20rocsparse_direction_T2_S3_NS_24const_host_device_scalarIT1_EES3_S3_PKS3_PKT3_PKT4_l16rocsparse_order_S6_PT5_lSF_21rocsparse_index_base_b
	.p2align	8
	.type	_ZN9rocsparseL30bellmm_general_blockdim_kernelILi32ELi32EdidddEEv20rocsparse_operation_S1_20rocsparse_direction_T2_S3_NS_24const_host_device_scalarIT1_EES3_S3_PKS3_PKT3_PKT4_l16rocsparse_order_S6_PT5_lSF_21rocsparse_index_base_b,@function
_ZN9rocsparseL30bellmm_general_blockdim_kernelILi32ELi32EdidddEEv20rocsparse_operation_S1_20rocsparse_direction_T2_S3_NS_24const_host_device_scalarIT1_EES3_S3_PKS3_PKT3_PKT4_l16rocsparse_order_S6_PT5_lSF_21rocsparse_index_base_b: ; @_ZN9rocsparseL30bellmm_general_blockdim_kernelILi32ELi32EdidddEEv20rocsparse_operation_S1_20rocsparse_direction_T2_S3_NS_24const_host_device_scalarIT1_EES3_S3_PKS3_PKT3_PKT4_l16rocsparse_order_S6_PT5_lSF_21rocsparse_index_base_b
; %bb.0:
	s_load_dwordx4 s[20:23], s[4:5], 0x68
	s_load_dwordx2 s[8:9], s[4:5], 0x18
	s_load_dwordx2 s[0:1], s[4:5], 0x50
	s_waitcnt lgkmcnt(0)
	s_bitcmp1_b32 s22, 0
	s_cselect_b64 s[10:11], -1, 0
	v_mov_b32_e32 v2, s8
	s_xor_b64 s[2:3], s[10:11], -1
	s_and_b64 vcc, exec, s[10:11]
	v_mov_b32_e32 v3, s9
	s_cbranch_vccnz .LBB4_2
; %bb.1:
	v_mov_b32_e32 v2, s8
	v_mov_b32_e32 v3, s9
	flat_load_dwordx2 v[2:3], v[2:3]
.LBB4_2:
	v_mov_b32_e32 v5, s1
	s_andn2_b64 vcc, exec, s[2:3]
	v_mov_b32_e32 v4, s0
	s_cbranch_vccnz .LBB4_4
; %bb.3:
	v_mov_b32_e32 v5, s1
	v_mov_b32_e32 v4, s0
	flat_load_dwordx2 v[4:5], v[4:5]
.LBB4_4:
	s_waitcnt vmcnt(0) lgkmcnt(0)
	v_cmp_neq_f64_e32 vcc, 0, v[2:3]
	v_cmp_neq_f64_e64 s[0:1], 1.0, v[4:5]
	s_or_b64 s[0:1], vcc, s[0:1]
	s_and_saveexec_b64 s[2:3], s[0:1]
	s_cbranch_execz .LBB4_45
; %bb.5:
	s_load_dwordx4 s[8:11], s[4:5], 0x4
	s_load_dwordx2 s[22:23], s[4:5], 0x20
	s_mov_b32 s33, 0
	s_waitcnt lgkmcnt(0)
	s_cmp_lt_i32 s6, s10
	s_cselect_b64 s[2:3], -1, 0
	s_cmp_ge_i32 s6, s10
	s_cbranch_scc1 .LBB4_7
; %bb.6:
	s_abs_i32 s0, s23
	v_cvt_f32_u32_e32 v6, s0
	s_sub_i32 s13, 0, s0
	s_abs_i32 s12, s22
	s_xor_b32 s1, s22, s23
	v_rcp_iflag_f32_e32 v6, v6
	s_ashr_i32 s1, s1, 31
	v_mul_f32_e32 v6, 0x4f7ffffe, v6
	v_cvt_u32_f32_e32 v6, v6
	v_readfirstlane_b32 s14, v6
	s_mul_i32 s13, s13, s14
	s_mul_hi_u32 s13, s14, s13
	s_add_i32 s14, s14, s13
	s_mul_hi_u32 s13, s12, s14
	s_mul_i32 s14, s13, s0
	s_sub_i32 s12, s12, s14
	s_add_i32 s15, s13, 1
	s_sub_i32 s14, s12, s0
	s_cmp_ge_u32 s12, s0
	s_cselect_b32 s13, s15, s13
	s_cselect_b32 s12, s14, s12
	s_add_i32 s14, s13, 1
	s_cmp_ge_u32 s12, s0
	s_cselect_b32 s0, s14, s13
	s_xor_b32 s0, s0, s1
	s_sub_i32 s33, s0, s1
.LBB4_7:
	s_cmp_lt_i32 s23, 1
	s_cbranch_scc1 .LBB4_45
; %bb.8:
	s_load_dwordx8 s[12:19], s[4:5], 0x28
	v_lshl_add_u32 v6, s7, 5, v1
	v_ashrrev_i32_e32 v7, 31, v6
	s_load_dwordx4 s[24:27], s[4:5], 0x58
	s_load_dword s28, s[4:5], 0x48
	s_cmp_gt_i32 s33, 0
	s_waitcnt lgkmcnt(0)
	v_mul_lo_u32 v10, s18, v7
	v_mul_lo_u32 v11, s19, v6
	v_mad_u64_u32 v[8:9], s[0:1], s18, v6, 0
	s_cselect_b64 s[4:5], -1, 0
	v_mov_b32_e32 v12, s17
	v_add3_u32 v9, v9, v10, v11
	v_lshlrev_b64 v[10:11], 3, v[6:7]
	s_cmpk_eq_i32 s8, 0x6f
	v_add_co_u32_e32 v17, vcc, s16, v10
	v_lshlrev_b64 v[8:9], 3, v[8:9]
	v_addc_co_u32_e32 v18, vcc, v12, v11, vcc
	s_cselect_b64 s[34:35], -1, 0
	s_cmp_lg_u32 s28, 1
	s_cselect_b64 s[36:37], -1, 0
	v_mov_b32_e32 v11, s17
	v_add_co_u32_e32 v21, vcc, s16, v8
	s_cmp_lg_u32 s9, 0
	v_cmp_gt_i32_e64 s[0:1], s11, v6
	v_addc_co_u32_e32 v22, vcc, v11, v9, vcc
	v_mul_lo_u32 v11, s26, v7
	v_mul_lo_u32 v12, s27, v6
	v_mad_u64_u32 v[8:9], s[8:9], s26, v6, 0
	s_cselect_b64 s[16:17], -1, 0
	s_cmp_lg_u32 s20, 1
	s_cselect_b64 s[28:29], -1, 0
	s_and_b64 s[30:31], s[2:3], s[0:1]
	v_cmp_neq_f64_e64 s[2:3], 0, v[4:5]
	s_mul_i32 s7, s23, s6
	v_add3_u32 v9, v9, v11, v12
	v_add_u32_e32 v11, s7, v1
	v_mul_lo_u32 v23, s23, v11
	v_lshlrev_b32_e32 v19, 3, v0
	v_or_b32_e32 v10, 0x2000, v19
	v_lshlrev_b32_e32 v20, 8, v1
	s_xor_b64 s[8:9], s[34:35], s[36:37]
	s_mul_i32 s11, s23, s23
	v_cndmask_b32_e64 v11, 0, 1, s[4:5]
	s_mov_b32 s22, 0
	s_xor_b64 s[34:35], s[8:9], -1
	s_mul_i32 s11, s11, s10
	s_lshl_b32 s20, s23, 5
	v_cmp_ne_u32_e64 s[4:5], 1, v11
	v_mov_b32_e32 v11, 0
	v_add_u32_e32 v24, v10, v20
	s_branch .LBB4_10
.LBB4_9:                                ;   in Loop: Header=BB4_10 Depth=1
	s_or_b64 exec, exec, s[8:9]
	s_add_i32 s22, s22, 32
	s_cmp_lt_i32 s22, s23
	v_add_u32_e32 v23, 32, v23
	s_cbranch_scc0 .LBB4_45
.LBB4_10:                               ; =>This Loop Header: Depth=1
                                        ;     Child Loop BB4_13 Depth 2
                                        ;       Child Loop BB4_15 Depth 3
	v_add_u32_e32 v25, s22, v0
	s_and_b64 vcc, exec, s[4:5]
	v_cmp_gt_i32_e64 s[8:9], s23, v25
	s_cbranch_vccnz .LBB4_35
; %bb.11:                               ;   in Loop: Header=BB4_10 Depth=1
	v_mov_b32_e32 v12, 0
	s_mov_b32 s46, 0
	v_mov_b32_e32 v13, 0
	v_mov_b32_e32 v26, v23
	s_branch .LBB4_13
.LBB4_12:                               ;   in Loop: Header=BB4_13 Depth=2
	s_add_i32 s46, s46, 1
	s_cmp_eq_u32 s46, s33
	v_add_u32_e32 v26, s11, v26
	s_cbranch_scc1 .LBB4_36
.LBB4_13:                               ;   Parent Loop BB4_10 Depth=1
                                        ; =>  This Loop Header: Depth=2
                                        ;       Child Loop BB4_15 Depth 3
	s_mul_i32 s36, s46, s10
	s_add_i32 s36, s36, s6
	s_ashr_i32 s37, s36, 31
	s_lshl_b64 s[38:39], s[36:37], 2
	s_add_u32 s38, s12, s38
	s_addc_u32 s39, s13, s39
	s_load_dword s37, s[38:39], 0x0
	s_mul_i32 s36, s36, s23
	v_add_u32_e32 v10, s36, v25
	v_mul_lo_u32 v27, v10, s23
	s_mov_b32 s47, 0
	s_waitcnt lgkmcnt(0)
	s_sub_i32 s36, s37, s21
	s_cmp_gt_i32 s36, -1
	s_mul_i32 s38, s36, s23
	s_cselect_b64 s[36:37], -1, 0
	v_add_u32_e32 v28, s38, v0
	s_mov_b32 s48, 0
	s_branch .LBB4_15
.LBB4_14:                               ;   in Loop: Header=BB4_15 Depth=3
	s_add_i32 s48, s48, 32
	s_add_i32 s47, s47, s20
	s_cmp_ge_i32 s48, s23
	s_barrier
	s_cbranch_scc1 .LBB4_12
.LBB4_15:                               ;   Parent Loop BB4_10 Depth=1
                                        ;     Parent Loop BB4_13 Depth=2
                                        ; =>    This Inner Loop Header: Depth=3
	v_add_u32_e32 v10, s48, v0
	v_cmp_gt_i32_e32 vcc, s23, v10
	s_and_b64 s[38:39], s[0:1], vcc
	s_and_b64 s[38:39], s[38:39], s[36:37]
	s_mov_b64 s[40:41], -1
	s_and_b64 vcc, exec, s[34:35]
                                        ; implicit-def: $vgpr14_vgpr15
	s_cbranch_vccz .LBB4_19
; %bb.16:                               ;   in Loop: Header=BB4_15 Depth=3
	v_mov_b32_e32 v14, 0
	v_mov_b32_e32 v15, 0
	s_and_saveexec_b64 s[40:41], s[38:39]
	s_cbranch_execz .LBB4_18
; %bb.17:                               ;   in Loop: Header=BB4_15 Depth=3
	v_add_u32_e32 v16, s48, v28
	v_mad_u64_u32 v[14:15], s[42:43], s18, v16, 0
	v_mov_b32_e32 v10, v15
	v_mad_u64_u32 v[15:16], s[42:43], s19, v16, v[10:11]
	v_lshlrev_b64 v[14:15], 3, v[14:15]
	v_add_co_u32_e32 v14, vcc, v17, v14
	v_addc_co_u32_e32 v15, vcc, v18, v15, vcc
	global_load_dwordx2 v[14:15], v[14:15], off
.LBB4_18:                               ;   in Loop: Header=BB4_15 Depth=3
	s_or_b64 exec, exec, s[40:41]
	s_mov_b64 s[40:41], 0
.LBB4_19:                               ;   in Loop: Header=BB4_15 Depth=3
	s_andn2_b64 vcc, exec, s[40:41]
	s_cbranch_vccnz .LBB4_23
; %bb.20:                               ;   in Loop: Header=BB4_15 Depth=3
	s_waitcnt vmcnt(0)
	v_mov_b32_e32 v14, 0
	v_mov_b32_e32 v15, 0
	s_and_saveexec_b64 s[40:41], s[38:39]
	s_cbranch_execz .LBB4_22
; %bb.21:                               ;   in Loop: Header=BB4_15 Depth=3
	v_add_u32_e32 v10, s48, v28
	v_lshlrev_b64 v[14:15], 3, v[10:11]
	v_add_co_u32_e32 v14, vcc, v21, v14
	v_addc_co_u32_e32 v15, vcc, v22, v15, vcc
	global_load_dwordx2 v[14:15], v[14:15], off
.LBB4_22:                               ;   in Loop: Header=BB4_15 Depth=3
	s_or_b64 exec, exec, s[40:41]
.LBB4_23:                               ;   in Loop: Header=BB4_15 Depth=3
	v_add_u32_e32 v10, s48, v1
	v_cmp_gt_i32_e32 vcc, s23, v10
	s_and_b64 s[38:39], s[8:9], vcc
	s_and_b64 s[40:41], s[38:39], s[36:37]
	s_and_b64 vcc, exec, s[16:17]
	s_waitcnt vmcnt(0)
	ds_write_b64 v24, v[14:15]
	s_cbranch_vccz .LBB4_31
; %bb.24:                               ;   in Loop: Header=BB4_15 Depth=3
	s_mov_b64 s[42:43], 0
	s_mov_b64 s[38:39], 0
                                        ; implicit-def: $vgpr14
	s_and_saveexec_b64 s[44:45], s[40:41]
	s_xor_b64 s[44:45], exec, s[44:45]
; %bb.25:                               ;   in Loop: Header=BB4_15 Depth=3
	v_add_u32_e32 v14, v0, v26
	s_mov_b64 s[38:39], exec
	v_add_u32_e32 v14, s47, v14
; %bb.26:                               ;   in Loop: Header=BB4_15 Depth=3
	s_or_b64 exec, exec, s[44:45]
	s_and_b64 vcc, exec, s[42:43]
	s_cbranch_vccnz .LBB4_32
.LBB4_27:                               ;   in Loop: Header=BB4_15 Depth=3
	v_mov_b32_e32 v15, 0
	v_mov_b32_e32 v16, 0
	s_and_saveexec_b64 s[40:41], s[38:39]
	s_cbranch_execz .LBB4_29
.LBB4_28:                               ;   in Loop: Header=BB4_15 Depth=3
	v_ashrrev_i32_e32 v15, 31, v14
	v_lshlrev_b64 v[14:15], 3, v[14:15]
	v_mov_b32_e32 v10, s15
	v_add_co_u32_e32 v14, vcc, s14, v14
	v_addc_co_u32_e32 v15, vcc, v10, v15, vcc
	global_load_dwordx2 v[15:16], v[14:15], off
.LBB4_29:                               ;   in Loop: Header=BB4_15 Depth=3
	s_or_b64 exec, exec, s[40:41]
	v_add_u32_e32 v10, v19, v20
	s_andn2_b64 vcc, exec, s[36:37]
	s_waitcnt vmcnt(0)
	ds_write_b64 v10, v[15:16]
	s_waitcnt lgkmcnt(0)
	s_barrier
	s_cbranch_vccnz .LBB4_14
; %bb.30:                               ;   in Loop: Header=BB4_15 Depth=3
	ds_read2_b64 v[29:32], v19 offset1:32
	ds_read_b128 v[33:36], v20 offset:8192
	ds_read_b128 v[37:40], v20 offset:8208
	v_add_u32_e32 v10, 0x800, v19
	s_waitcnt lgkmcnt(1)
	v_fma_f64 v[12:13], v[29:30], v[33:34], v[12:13]
	v_fma_f64 v[29:30], v[31:32], v[35:36], v[12:13]
	ds_read2_b64 v[12:15], v19 offset0:64 offset1:96
	s_waitcnt lgkmcnt(0)
	v_fma_f64 v[12:13], v[12:13], v[37:38], v[29:30]
	v_fma_f64 v[37:38], v[14:15], v[39:40], v[12:13]
	ds_read2_b64 v[12:15], v19 offset0:128 offset1:160
	ds_read_b128 v[29:32], v20 offset:8224
	ds_read_b128 v[33:36], v20 offset:8240
	s_waitcnt lgkmcnt(1)
	v_fma_f64 v[12:13], v[12:13], v[29:30], v[37:38]
	v_fma_f64 v[29:30], v[14:15], v[31:32], v[12:13]
	ds_read2_b64 v[12:15], v19 offset0:192 offset1:224
	s_waitcnt lgkmcnt(0)
	v_fma_f64 v[12:13], v[12:13], v[33:34], v[29:30]
	v_fma_f64 v[37:38], v[14:15], v[35:36], v[12:13]
	ds_read2_b64 v[12:15], v10 offset1:32
	ds_read_b128 v[29:32], v20 offset:8256
	ds_read_b128 v[33:36], v20 offset:8272
	s_waitcnt lgkmcnt(1)
	v_fma_f64 v[12:13], v[12:13], v[29:30], v[37:38]
	v_fma_f64 v[29:30], v[14:15], v[31:32], v[12:13]
	ds_read2_b64 v[12:15], v10 offset0:64 offset1:96
	s_waitcnt lgkmcnt(0)
	v_fma_f64 v[12:13], v[12:13], v[33:34], v[29:30]
	v_fma_f64 v[37:38], v[14:15], v[35:36], v[12:13]
	ds_read2_b64 v[12:15], v10 offset0:128 offset1:160
	ds_read_b128 v[29:32], v20 offset:8288
	ds_read_b128 v[33:36], v20 offset:8304
	s_waitcnt lgkmcnt(1)
	v_fma_f64 v[12:13], v[12:13], v[29:30], v[37:38]
	v_fma_f64 v[29:30], v[14:15], v[31:32], v[12:13]
	ds_read2_b64 v[12:15], v10 offset0:192 offset1:224
	v_add_u32_e32 v10, 0x1000, v19
	s_waitcnt lgkmcnt(0)
	v_fma_f64 v[12:13], v[12:13], v[33:34], v[29:30]
	v_fma_f64 v[37:38], v[14:15], v[35:36], v[12:13]
	ds_read2_b64 v[12:15], v10 offset1:32
	ds_read_b128 v[29:32], v20 offset:8320
	ds_read_b128 v[33:36], v20 offset:8336
	s_waitcnt lgkmcnt(1)
	v_fma_f64 v[12:13], v[12:13], v[29:30], v[37:38]
	v_fma_f64 v[29:30], v[14:15], v[31:32], v[12:13]
	ds_read2_b64 v[12:15], v10 offset0:64 offset1:96
	s_waitcnt lgkmcnt(0)
	v_fma_f64 v[12:13], v[12:13], v[33:34], v[29:30]
	v_fma_f64 v[37:38], v[14:15], v[35:36], v[12:13]
	ds_read2_b64 v[12:15], v10 offset0:128 offset1:160
	ds_read_b128 v[29:32], v20 offset:8352
	ds_read_b128 v[33:36], v20 offset:8368
	s_waitcnt lgkmcnt(1)
	v_fma_f64 v[12:13], v[12:13], v[29:30], v[37:38]
	v_fma_f64 v[29:30], v[14:15], v[31:32], v[12:13]
	ds_read2_b64 v[12:15], v10 offset0:192 offset1:224
	v_add_u32_e32 v10, 0x1800, v19
	s_waitcnt lgkmcnt(0)
	v_fma_f64 v[12:13], v[12:13], v[33:34], v[29:30]
	v_fma_f64 v[37:38], v[14:15], v[35:36], v[12:13]
	ds_read2_b64 v[12:15], v10 offset1:32
	ds_read_b128 v[29:32], v20 offset:8384
	ds_read_b128 v[33:36], v20 offset:8400
	s_waitcnt lgkmcnt(1)
	v_fma_f64 v[12:13], v[12:13], v[29:30], v[37:38]
	v_fma_f64 v[29:30], v[14:15], v[31:32], v[12:13]
	ds_read2_b64 v[12:15], v10 offset0:64 offset1:96
	s_waitcnt lgkmcnt(0)
	v_fma_f64 v[12:13], v[12:13], v[33:34], v[29:30]
	v_fma_f64 v[37:38], v[14:15], v[35:36], v[12:13]
	ds_read2_b64 v[12:15], v10 offset0:128 offset1:160
	ds_read_b128 v[29:32], v20 offset:8416
	ds_read_b128 v[33:36], v20 offset:8432
	s_waitcnt lgkmcnt(1)
	v_fma_f64 v[12:13], v[12:13], v[29:30], v[37:38]
	v_fma_f64 v[29:30], v[14:15], v[31:32], v[12:13]
	ds_read2_b64 v[12:15], v10 offset0:192 offset1:224
	s_waitcnt lgkmcnt(0)
	v_fma_f64 v[12:13], v[12:13], v[33:34], v[29:30]
	v_fma_f64 v[12:13], v[14:15], v[35:36], v[12:13]
	s_branch .LBB4_14
.LBB4_31:                               ;   in Loop: Header=BB4_15 Depth=3
	s_mov_b64 s[38:39], 0
                                        ; implicit-def: $vgpr14
	s_cbranch_execz .LBB4_27
.LBB4_32:                               ;   in Loop: Header=BB4_15 Depth=3
                                        ; implicit-def: $vgpr14
	s_and_saveexec_b64 s[42:43], s[40:41]
; %bb.33:                               ;   in Loop: Header=BB4_15 Depth=3
	v_add_u32_e32 v14, v10, v27
	s_or_b64 s[38:39], s[38:39], exec
; %bb.34:                               ;   in Loop: Header=BB4_15 Depth=3
	s_or_b64 exec, exec, s[42:43]
	v_mov_b32_e32 v15, 0
	v_mov_b32_e32 v16, 0
	s_and_saveexec_b64 s[40:41], s[38:39]
	s_cbranch_execnz .LBB4_28
	s_branch .LBB4_29
.LBB4_35:                               ;   in Loop: Header=BB4_10 Depth=1
	v_mov_b32_e32 v12, 0
	v_mov_b32_e32 v13, 0
.LBB4_36:                               ;   in Loop: Header=BB4_10 Depth=1
	v_add_u32_e32 v10, s7, v25
	v_ashrrev_i32_e32 v16, 31, v10
	s_mov_b64 s[8:9], -1
	s_and_b64 vcc, exec, s[28:29]
                                        ; implicit-def: $vgpr14_vgpr15
	s_cbranch_vccnz .LBB4_39
; %bb.37:                               ;   in Loop: Header=BB4_10 Depth=1
	s_andn2_b64 vcc, exec, s[8:9]
	s_cbranch_vccz .LBB4_40
.LBB4_38:                               ;   in Loop: Header=BB4_10 Depth=1
	v_cmp_gt_i32_e32 vcc, s23, v25
	s_and_b64 s[36:37], s[30:31], vcc
	s_and_saveexec_b64 s[8:9], s[36:37]
	s_cbranch_execz .LBB4_9
	s_branch .LBB4_41
.LBB4_39:                               ;   in Loop: Header=BB4_10 Depth=1
	v_mad_u64_u32 v[14:15], s[8:9], s26, v10, v[6:7]
	v_mul_lo_u32 v26, s26, v16
	v_mul_lo_u32 v27, s27, v10
	v_add3_u32 v15, v27, v15, v26
	s_cbranch_execnz .LBB4_38
.LBB4_40:                               ;   in Loop: Header=BB4_10 Depth=1
	v_add_co_u32_e32 v14, vcc, v8, v10
	v_addc_co_u32_e32 v15, vcc, v9, v16, vcc
	v_cmp_gt_i32_e32 vcc, s23, v25
	s_and_b64 s[36:37], s[30:31], vcc
	s_and_saveexec_b64 s[8:9], s[36:37]
	s_cbranch_execz .LBB4_9
.LBB4_41:                               ;   in Loop: Header=BB4_10 Depth=1
	v_mul_f64 v[12:13], v[2:3], v[12:13]
	v_lshlrev_b64 v[14:15], 3, v[14:15]
	s_and_saveexec_b64 s[36:37], s[2:3]
	s_xor_b64 s[36:37], exec, s[36:37]
	s_cbranch_execz .LBB4_43
; %bb.42:                               ;   in Loop: Header=BB4_10 Depth=1
	v_mov_b32_e32 v10, s25
	v_add_co_u32_e32 v14, vcc, s24, v14
	v_addc_co_u32_e32 v15, vcc, v10, v15, vcc
	global_load_dwordx2 v[25:26], v[14:15], off
	s_waitcnt vmcnt(0)
	v_fma_f64 v[12:13], v[4:5], v[25:26], v[12:13]
	global_store_dwordx2 v[14:15], v[12:13], off
                                        ; implicit-def: $vgpr14_vgpr15
                                        ; implicit-def: $vgpr12_vgpr13
.LBB4_43:                               ;   in Loop: Header=BB4_10 Depth=1
	s_andn2_saveexec_b64 s[36:37], s[36:37]
	s_cbranch_execz .LBB4_9
; %bb.44:                               ;   in Loop: Header=BB4_10 Depth=1
	v_mov_b32_e32 v10, s25
	v_add_co_u32_e32 v14, vcc, s24, v14
	v_addc_co_u32_e32 v15, vcc, v10, v15, vcc
	global_store_dwordx2 v[14:15], v[12:13], off
	s_branch .LBB4_9
.LBB4_45:
	s_endpgm
	.section	.rodata,"a",@progbits
	.p2align	6, 0x0
	.amdhsa_kernel _ZN9rocsparseL30bellmm_general_blockdim_kernelILi32ELi32EdidddEEv20rocsparse_operation_S1_20rocsparse_direction_T2_S3_NS_24const_host_device_scalarIT1_EES3_S3_PKS3_PKT3_PKT4_l16rocsparse_order_S6_PT5_lSF_21rocsparse_index_base_b
		.amdhsa_group_segment_fixed_size 16384
		.amdhsa_private_segment_fixed_size 0
		.amdhsa_kernarg_size 116
		.amdhsa_user_sgpr_count 6
		.amdhsa_user_sgpr_private_segment_buffer 1
		.amdhsa_user_sgpr_dispatch_ptr 0
		.amdhsa_user_sgpr_queue_ptr 0
		.amdhsa_user_sgpr_kernarg_segment_ptr 1
		.amdhsa_user_sgpr_dispatch_id 0
		.amdhsa_user_sgpr_flat_scratch_init 0
		.amdhsa_user_sgpr_private_segment_size 0
		.amdhsa_uses_dynamic_stack 0
		.amdhsa_system_sgpr_private_segment_wavefront_offset 0
		.amdhsa_system_sgpr_workgroup_id_x 1
		.amdhsa_system_sgpr_workgroup_id_y 1
		.amdhsa_system_sgpr_workgroup_id_z 0
		.amdhsa_system_sgpr_workgroup_info 0
		.amdhsa_system_vgpr_workitem_id 1
		.amdhsa_next_free_vgpr 41
		.amdhsa_next_free_sgpr 61
		.amdhsa_reserve_vcc 1
		.amdhsa_reserve_flat_scratch 0
		.amdhsa_float_round_mode_32 0
		.amdhsa_float_round_mode_16_64 0
		.amdhsa_float_denorm_mode_32 3
		.amdhsa_float_denorm_mode_16_64 3
		.amdhsa_dx10_clamp 1
		.amdhsa_ieee_mode 1
		.amdhsa_fp16_overflow 0
		.amdhsa_exception_fp_ieee_invalid_op 0
		.amdhsa_exception_fp_denorm_src 0
		.amdhsa_exception_fp_ieee_div_zero 0
		.amdhsa_exception_fp_ieee_overflow 0
		.amdhsa_exception_fp_ieee_underflow 0
		.amdhsa_exception_fp_ieee_inexact 0
		.amdhsa_exception_int_div_zero 0
	.end_amdhsa_kernel
	.section	.text._ZN9rocsparseL30bellmm_general_blockdim_kernelILi32ELi32EdidddEEv20rocsparse_operation_S1_20rocsparse_direction_T2_S3_NS_24const_host_device_scalarIT1_EES3_S3_PKS3_PKT3_PKT4_l16rocsparse_order_S6_PT5_lSF_21rocsparse_index_base_b,"axG",@progbits,_ZN9rocsparseL30bellmm_general_blockdim_kernelILi32ELi32EdidddEEv20rocsparse_operation_S1_20rocsparse_direction_T2_S3_NS_24const_host_device_scalarIT1_EES3_S3_PKS3_PKT3_PKT4_l16rocsparse_order_S6_PT5_lSF_21rocsparse_index_base_b,comdat
.Lfunc_end4:
	.size	_ZN9rocsparseL30bellmm_general_blockdim_kernelILi32ELi32EdidddEEv20rocsparse_operation_S1_20rocsparse_direction_T2_S3_NS_24const_host_device_scalarIT1_EES3_S3_PKS3_PKT3_PKT4_l16rocsparse_order_S6_PT5_lSF_21rocsparse_index_base_b, .Lfunc_end4-_ZN9rocsparseL30bellmm_general_blockdim_kernelILi32ELi32EdidddEEv20rocsparse_operation_S1_20rocsparse_direction_T2_S3_NS_24const_host_device_scalarIT1_EES3_S3_PKS3_PKT3_PKT4_l16rocsparse_order_S6_PT5_lSF_21rocsparse_index_base_b
                                        ; -- End function
	.set _ZN9rocsparseL30bellmm_general_blockdim_kernelILi32ELi32EdidddEEv20rocsparse_operation_S1_20rocsparse_direction_T2_S3_NS_24const_host_device_scalarIT1_EES3_S3_PKS3_PKT3_PKT4_l16rocsparse_order_S6_PT5_lSF_21rocsparse_index_base_b.num_vgpr, 41
	.set _ZN9rocsparseL30bellmm_general_blockdim_kernelILi32ELi32EdidddEEv20rocsparse_operation_S1_20rocsparse_direction_T2_S3_NS_24const_host_device_scalarIT1_EES3_S3_PKS3_PKT3_PKT4_l16rocsparse_order_S6_PT5_lSF_21rocsparse_index_base_b.num_agpr, 0
	.set _ZN9rocsparseL30bellmm_general_blockdim_kernelILi32ELi32EdidddEEv20rocsparse_operation_S1_20rocsparse_direction_T2_S3_NS_24const_host_device_scalarIT1_EES3_S3_PKS3_PKT3_PKT4_l16rocsparse_order_S6_PT5_lSF_21rocsparse_index_base_b.numbered_sgpr, 49
	.set _ZN9rocsparseL30bellmm_general_blockdim_kernelILi32ELi32EdidddEEv20rocsparse_operation_S1_20rocsparse_direction_T2_S3_NS_24const_host_device_scalarIT1_EES3_S3_PKS3_PKT3_PKT4_l16rocsparse_order_S6_PT5_lSF_21rocsparse_index_base_b.num_named_barrier, 0
	.set _ZN9rocsparseL30bellmm_general_blockdim_kernelILi32ELi32EdidddEEv20rocsparse_operation_S1_20rocsparse_direction_T2_S3_NS_24const_host_device_scalarIT1_EES3_S3_PKS3_PKT3_PKT4_l16rocsparse_order_S6_PT5_lSF_21rocsparse_index_base_b.private_seg_size, 0
	.set _ZN9rocsparseL30bellmm_general_blockdim_kernelILi32ELi32EdidddEEv20rocsparse_operation_S1_20rocsparse_direction_T2_S3_NS_24const_host_device_scalarIT1_EES3_S3_PKS3_PKT3_PKT4_l16rocsparse_order_S6_PT5_lSF_21rocsparse_index_base_b.uses_vcc, 1
	.set _ZN9rocsparseL30bellmm_general_blockdim_kernelILi32ELi32EdidddEEv20rocsparse_operation_S1_20rocsparse_direction_T2_S3_NS_24const_host_device_scalarIT1_EES3_S3_PKS3_PKT3_PKT4_l16rocsparse_order_S6_PT5_lSF_21rocsparse_index_base_b.uses_flat_scratch, 0
	.set _ZN9rocsparseL30bellmm_general_blockdim_kernelILi32ELi32EdidddEEv20rocsparse_operation_S1_20rocsparse_direction_T2_S3_NS_24const_host_device_scalarIT1_EES3_S3_PKS3_PKT3_PKT4_l16rocsparse_order_S6_PT5_lSF_21rocsparse_index_base_b.has_dyn_sized_stack, 0
	.set _ZN9rocsparseL30bellmm_general_blockdim_kernelILi32ELi32EdidddEEv20rocsparse_operation_S1_20rocsparse_direction_T2_S3_NS_24const_host_device_scalarIT1_EES3_S3_PKS3_PKT3_PKT4_l16rocsparse_order_S6_PT5_lSF_21rocsparse_index_base_b.has_recursion, 0
	.set _ZN9rocsparseL30bellmm_general_blockdim_kernelILi32ELi32EdidddEEv20rocsparse_operation_S1_20rocsparse_direction_T2_S3_NS_24const_host_device_scalarIT1_EES3_S3_PKS3_PKT3_PKT4_l16rocsparse_order_S6_PT5_lSF_21rocsparse_index_base_b.has_indirect_call, 0
	.section	.AMDGPU.csdata,"",@progbits
; Kernel info:
; codeLenInByte = 1944
; TotalNumSgprs: 53
; NumVgprs: 41
; ScratchSize: 0
; MemoryBound: 0
; FloatMode: 240
; IeeeMode: 1
; LDSByteSize: 16384 bytes/workgroup (compile time only)
; SGPRBlocks: 8
; VGPRBlocks: 10
; NumSGPRsForWavesPerEU: 65
; NumVGPRsForWavesPerEU: 41
; Occupancy: 5
; WaveLimiterHint : 1
; COMPUTE_PGM_RSRC2:SCRATCH_EN: 0
; COMPUTE_PGM_RSRC2:USER_SGPR: 6
; COMPUTE_PGM_RSRC2:TRAP_HANDLER: 0
; COMPUTE_PGM_RSRC2:TGID_X_EN: 1
; COMPUTE_PGM_RSRC2:TGID_Y_EN: 1
; COMPUTE_PGM_RSRC2:TGID_Z_EN: 0
; COMPUTE_PGM_RSRC2:TIDIG_COMP_CNT: 1
	.section	.text._ZN9rocsparseL30bellmm_general_blockdim_kernelILi32ELi32EdldddEEv20rocsparse_operation_S1_20rocsparse_direction_T2_S3_NS_24const_host_device_scalarIT1_EES3_S3_PKS3_PKT3_PKT4_l16rocsparse_order_S6_PT5_lSF_21rocsparse_index_base_b,"axG",@progbits,_ZN9rocsparseL30bellmm_general_blockdim_kernelILi32ELi32EdldddEEv20rocsparse_operation_S1_20rocsparse_direction_T2_S3_NS_24const_host_device_scalarIT1_EES3_S3_PKS3_PKT3_PKT4_l16rocsparse_order_S6_PT5_lSF_21rocsparse_index_base_b,comdat
	.globl	_ZN9rocsparseL30bellmm_general_blockdim_kernelILi32ELi32EdldddEEv20rocsparse_operation_S1_20rocsparse_direction_T2_S3_NS_24const_host_device_scalarIT1_EES3_S3_PKS3_PKT3_PKT4_l16rocsparse_order_S6_PT5_lSF_21rocsparse_index_base_b ; -- Begin function _ZN9rocsparseL30bellmm_general_blockdim_kernelILi32ELi32EdldddEEv20rocsparse_operation_S1_20rocsparse_direction_T2_S3_NS_24const_host_device_scalarIT1_EES3_S3_PKS3_PKT3_PKT4_l16rocsparse_order_S6_PT5_lSF_21rocsparse_index_base_b
	.p2align	8
	.type	_ZN9rocsparseL30bellmm_general_blockdim_kernelILi32ELi32EdldddEEv20rocsparse_operation_S1_20rocsparse_direction_T2_S3_NS_24const_host_device_scalarIT1_EES3_S3_PKS3_PKT3_PKT4_l16rocsparse_order_S6_PT5_lSF_21rocsparse_index_base_b,@function
_ZN9rocsparseL30bellmm_general_blockdim_kernelILi32ELi32EdldddEEv20rocsparse_operation_S1_20rocsparse_direction_T2_S3_NS_24const_host_device_scalarIT1_EES3_S3_PKS3_PKT3_PKT4_l16rocsparse_order_S6_PT5_lSF_21rocsparse_index_base_b: ; @_ZN9rocsparseL30bellmm_general_blockdim_kernelILi32ELi32EdldddEEv20rocsparse_operation_S1_20rocsparse_direction_T2_S3_NS_24const_host_device_scalarIT1_EES3_S3_PKS3_PKT3_PKT4_l16rocsparse_order_S6_PT5_lSF_21rocsparse_index_base_b
; %bb.0:
	s_load_dwordx4 s[8:11], s[4:5], 0x78
	s_load_dwordx8 s[12:19], s[4:5], 0x10
	s_load_dwordx2 s[2:3], s[4:5], 0x60
	s_mov_b32 s0, s7
	v_mov_b32_e32 v2, v1
	s_waitcnt lgkmcnt(0)
	s_bitcmp1_b32 s10, 0
	s_cselect_b64 s[20:21], -1, 0
	v_mov_b32_e32 v3, s16
	s_xor_b64 s[10:11], s[20:21], -1
	s_and_b64 vcc, exec, s[20:21]
	v_mov_b32_e32 v4, s17
	s_cbranch_vccnz .LBB5_2
; %bb.1:
	v_mov_b32_e32 v3, s16
	v_mov_b32_e32 v4, s17
	flat_load_dwordx2 v[3:4], v[3:4]
.LBB5_2:
	v_mov_b32_e32 v6, s3
	s_andn2_b64 vcc, exec, s[10:11]
	v_mov_b32_e32 v5, s2
	s_cbranch_vccnz .LBB5_4
; %bb.3:
	v_mov_b32_e32 v6, s3
	v_mov_b32_e32 v5, s2
	flat_load_dwordx2 v[5:6], v[5:6]
.LBB5_4:
	s_waitcnt vmcnt(0) lgkmcnt(0)
	v_cmp_neq_f64_e32 vcc, 0, v[3:4]
	v_cmp_neq_f64_e64 s[2:3], 1.0, v[5:6]
	s_mov_b64 s[30:31], 0
	s_or_b64 s[2:3], vcc, s[2:3]
	s_and_saveexec_b64 s[10:11], s[2:3]
	s_cbranch_execz .LBB5_45
; %bb.5:
	s_mov_b32 s7, 0
	s_load_dwordx2 s[28:29], s[4:5], 0x30
	v_mov_b32_e32 v8, s7
	v_mov_b32_e32 v7, s6
	v_cmp_le_i64_e32 vcc, s[12:13], v[7:8]
	v_cmp_gt_i64_e64 s[2:3], s[12:13], v[7:8]
	s_cbranch_vccnz .LBB5_9
; %bb.6:
	s_waitcnt lgkmcnt(0)
	s_or_b64 s[10:11], s[18:19], s[28:29]
	s_mov_b32 s10, s7
	s_cmp_lg_u64 s[10:11], 0
	s_cbranch_scc0 .LBB5_46
; %bb.7:
	s_ashr_i32 s10, s29, 31
	s_add_u32 s16, s28, s10
	s_mov_b32 s11, s10
	s_addc_u32 s17, s29, s10
	s_xor_b64 s[20:21], s[16:17], s[10:11]
	v_cvt_f32_u32_e32 v1, s20
	v_cvt_f32_u32_e32 v7, s21
	s_sub_u32 s1, 0, s20
	s_subb_u32 s7, 0, s21
	v_madmk_f32 v1, v7, 0x4f800000, v1
	v_rcp_f32_e32 v1, v1
	v_mul_f32_e32 v1, 0x5f7ffffc, v1
	v_mul_f32_e32 v7, 0x2f800000, v1
	v_trunc_f32_e32 v7, v7
	v_madmk_f32 v1, v7, 0xcf800000, v1
	v_cvt_u32_f32_e32 v7, v7
	v_cvt_u32_f32_e32 v1, v1
	v_readfirstlane_b32 s24, v7
	v_readfirstlane_b32 s22, v1
	s_mul_i32 s23, s1, s24
	s_mul_hi_u32 s26, s1, s22
	s_mul_i32 s25, s7, s22
	s_add_i32 s23, s26, s23
	s_add_i32 s23, s23, s25
	s_mul_i32 s27, s1, s22
	s_mul_i32 s26, s22, s23
	s_mul_hi_u32 s30, s22, s27
	s_mul_hi_u32 s25, s22, s23
	s_add_u32 s26, s30, s26
	s_addc_u32 s25, 0, s25
	s_mul_hi_u32 s31, s24, s27
	s_mul_i32 s27, s24, s27
	s_add_u32 s26, s26, s27
	s_mul_hi_u32 s30, s24, s23
	s_addc_u32 s25, s25, s31
	s_addc_u32 s26, s30, 0
	s_mul_i32 s23, s24, s23
	s_add_u32 s23, s25, s23
	s_addc_u32 s25, 0, s26
	s_add_u32 s26, s22, s23
	s_cselect_b64 s[22:23], -1, 0
	s_cmp_lg_u64 s[22:23], 0
	s_addc_u32 s24, s24, s25
	s_mul_i32 s22, s1, s24
	s_mul_hi_u32 s23, s1, s26
	s_add_i32 s22, s23, s22
	s_mul_i32 s7, s7, s26
	s_add_i32 s22, s22, s7
	s_mul_i32 s1, s1, s26
	s_mul_hi_u32 s23, s24, s1
	s_mul_i32 s25, s24, s1
	s_mul_i32 s30, s26, s22
	s_mul_hi_u32 s1, s26, s1
	s_mul_hi_u32 s27, s26, s22
	s_add_u32 s1, s1, s30
	s_addc_u32 s27, 0, s27
	s_add_u32 s1, s1, s25
	s_mul_hi_u32 s7, s24, s22
	s_addc_u32 s1, s27, s23
	s_addc_u32 s7, s7, 0
	s_mul_i32 s22, s24, s22
	s_add_u32 s1, s1, s22
	s_addc_u32 s7, 0, s7
	s_add_u32 s1, s26, s1
	s_cselect_b64 s[22:23], -1, 0
	s_cmp_lg_u64 s[22:23], 0
	s_addc_u32 s7, s24, s7
	s_ashr_i32 s22, s19, 31
	s_add_u32 s24, s18, s22
	s_mov_b32 s23, s22
	s_addc_u32 s25, s19, s22
	s_xor_b64 s[24:25], s[24:25], s[22:23]
	s_mul_i32 s26, s24, s7
	s_mul_hi_u32 s27, s24, s1
	s_mul_hi_u32 s19, s24, s7
	s_add_u32 s26, s27, s26
	s_addc_u32 s19, 0, s19
	s_mul_hi_u32 s30, s25, s1
	s_mul_i32 s1, s25, s1
	s_add_u32 s1, s26, s1
	s_mul_hi_u32 s27, s25, s7
	s_addc_u32 s1, s19, s30
	s_addc_u32 s19, s27, 0
	s_mul_i32 s7, s25, s7
	s_add_u32 s1, s1, s7
	s_addc_u32 s7, 0, s19
	s_mul_i32 s19, s20, s7
	s_mul_hi_u32 s26, s20, s1
	s_add_i32 s19, s26, s19
	s_mul_i32 s26, s21, s1
	s_add_i32 s19, s19, s26
	s_sub_i32 s30, s25, s19
	s_mul_i32 s26, s20, s1
	s_sub_u32 s24, s24, s26
	s_cselect_b64 s[26:27], -1, 0
	s_cmp_lg_u64 s[26:27], 0
	s_subb_u32 s33, s30, s21
	s_sub_u32 s34, s24, s20
	s_cselect_b64 s[30:31], -1, 0
	s_cmp_lg_u64 s[30:31], 0
	s_subb_u32 s30, s33, 0
	s_cmp_ge_u32 s30, s21
	s_cselect_b32 s31, -1, 0
	s_cmp_ge_u32 s34, s20
	s_cselect_b32 s33, -1, 0
	s_cmp_eq_u32 s30, s21
	s_cselect_b32 s30, s33, s31
	s_add_u32 s31, s1, 1
	s_addc_u32 s33, s7, 0
	s_add_u32 s34, s1, 2
	s_addc_u32 s35, s7, 0
	s_cmp_lg_u32 s30, 0
	s_cselect_b32 s30, s34, s31
	s_cselect_b32 s31, s35, s33
	s_cmp_lg_u64 s[26:27], 0
	s_subb_u32 s19, s25, s19
	s_cmp_ge_u32 s19, s21
	s_cselect_b32 s25, -1, 0
	s_cmp_ge_u32 s24, s20
	s_cselect_b32 s20, -1, 0
	s_cmp_eq_u32 s19, s21
	s_cselect_b32 s19, s20, s25
	s_cmp_lg_u32 s19, 0
	s_cselect_b32 s21, s31, s7
	s_cselect_b32 s20, s30, s1
	s_xor_b64 s[10:11], s[22:23], s[10:11]
	s_xor_b64 s[20:21], s[20:21], s[10:11]
	s_sub_u32 s30, s20, s10
	s_subb_u32 s31, s21, s11
	s_cbranch_execnz .LBB5_9
.LBB5_8:
	v_cvt_f32_u32_e32 v1, s28
	s_sub_i32 s1, 0, s28
	s_mov_b32 s31, 0
	v_rcp_iflag_f32_e32 v1, v1
	v_mul_f32_e32 v1, 0x4f7ffffe, v1
	v_cvt_u32_f32_e32 v1, v1
	v_readfirstlane_b32 s7, v1
	s_mul_i32 s1, s1, s7
	s_mul_hi_u32 s1, s7, s1
	s_add_i32 s7, s7, s1
	s_mul_hi_u32 s1, s18, s7
	s_mul_i32 s10, s1, s28
	s_sub_i32 s10, s18, s10
	s_add_i32 s7, s1, 1
	s_sub_i32 s11, s10, s28
	s_cmp_ge_u32 s10, s28
	s_cselect_b32 s1, s7, s1
	s_cselect_b32 s10, s11, s10
	s_add_i32 s7, s1, 1
	s_cmp_ge_u32 s10, s28
	s_cselect_b32 s30, s7, s1
.LBB5_9:
	s_waitcnt lgkmcnt(0)
	v_cmp_lt_i64_e64 s[10:11], s[28:29], 1
	s_and_b64 vcc, exec, s[10:11]
	s_cbranch_vccnz .LBB5_45
; %bb.10:
	s_lshl_b32 s0, s0, 5
	v_add_co_u32_e32 v7, vcc, s0, v2
	s_load_dwordx2 s[10:11], s[4:5], 0x4
	s_load_dwordx4 s[24:27], s[4:5], 0x68
	s_load_dword s33, s[4:5], 0x58
	v_addc_co_u32_e64 v8, s[0:1], 0, 0, vcc
	s_mul_i32 s0, s29, s6
	s_mul_hi_u32 s1, s28, s6
	s_add_i32 s35, s1, s0
	s_waitcnt lgkmcnt(0)
	s_cmpk_eq_i32 s10, 0x6f
	s_load_dwordx8 s[16:23], s[4:5], 0x38
	s_cselect_b64 s[4:5], -1, 0
	s_cmp_lg_u32 s33, 1
	s_cselect_b64 s[42:43], -1, 0
	s_cmp_lg_u32 s11, 0
	v_mul_lo_u32 v10, s27, v7
	v_mul_lo_u32 v13, s26, v8
	v_mad_u64_u32 v[11:12], s[10:11], s26, v7, 0
	v_cmp_gt_i64_e64 s[0:1], s[14:15], v[7:8]
	s_cselect_b64 s[14:15], -1, 0
	s_cmp_lg_u32 s8, 1
	s_cselect_b64 s[38:39], -1, 0
	v_add3_u32 v12, v12, v13, v10
	s_and_b64 s[40:41], s[2:3], s[0:1]
	s_waitcnt lgkmcnt(0)
	v_mul_lo_u32 v10, s23, v7
	v_mul_lo_u32 v15, s22, v8
	v_mad_u64_u32 v[13:14], s[2:3], s22, v7, 0
	v_lshlrev_b32_e32 v9, 3, v0
	s_mul_i32 s34, s28, s6
	v_add3_u32 v14, v14, v15, v10
	v_lshlrev_b64 v[13:14], 3, v[13:14]
	s_xor_b64 s[4:5], s[4:5], s[42:43]
	v_add_co_u32_e32 v13, vcc, v13, v9
	s_xor_b64 s[42:43], s[4:5], -1
	v_addc_co_u32_e32 v14, vcc, 0, v14, vcc
	s_lshl_b64 s[4:5], s[34:35], 3
	v_mov_b32_e32 v1, 0
	v_mov_b32_e32 v20, s5
	v_add_co_u32_e32 v15, vcc, s4, v9
	v_addc_co_u32_e32 v16, vcc, 0, v20, vcc
	v_lshlrev_b32_e32 v17, 3, v2
	v_mov_b32_e32 v18, v1
	s_mov_b32 s7, s9
	v_mul_lo_u32 v21, s28, v16
	v_mul_lo_u32 v23, s29, v15
	v_mad_u64_u32 v[15:16], s[8:9], s28, v15, v[17:18]
	v_mov_b32_e32 v19, s21
	v_add_co_u32_e32 v13, vcc, s20, v13
	v_addc_co_u32_e32 v14, vcc, v19, v14, vcc
	s_mul_i32 s5, s28, s29
	s_mul_hi_u32 s8, s28, s28
	v_add3_u32 v16, v23, v16, v21
	v_mov_b32_e32 v18, s19
	v_add_co_u32_e32 v15, vcc, s18, v15
	s_add_i32 s8, s8, s5
	v_addc_co_u32_e32 v16, vcc, v18, v16, vcc
	s_add_i32 s5, s8, s5
	s_mul_i32 s8, s28, s28
	s_mul_i32 s9, s8, s13
	s_mul_hi_u32 s10, s8, s12
	v_add_co_u32_e32 v17, vcc, s4, v17
	v_cmp_neq_f64_e64 s[2:3], 0, v[5:6]
	v_mov_b32_e32 v10, v1
	s_add_i32 s9, s10, s9
	s_mul_i32 s5, s5, s12
	v_addc_co_u32_e32 v20, vcc, 0, v20, vcc
	s_add_i32 s9, s9, s5
	v_lshlrev_b64 v[18:19], 3, v[7:8]
	v_mul_lo_u32 v24, s28, v20
	v_mul_lo_u32 v25, s29, v17
	v_mad_u64_u32 v[20:21], s[4:5], s28, v17, v[9:10]
	v_mov_b32_e32 v23, s21
	v_add_co_u32_e32 v17, vcc, s20, v18
	v_addc_co_u32_e32 v18, vcc, v23, v19, vcc
	v_cmp_gt_i64_e64 s[4:5], s[30:31], 0
	v_add3_u32 v10, v25, v21, v24
	v_mov_b32_e32 v21, s19
	v_add_co_u32_e32 v19, vcc, s18, v20
	v_or_b32_e32 v22, 0x2000, v9
	v_lshlrev_b32_e32 v39, 8, v2
	s_mul_i32 s8, s8, s12
	v_addc_co_u32_e32 v20, vcc, v21, v10, vcc
	v_cndmask_b32_e64 v21, 0, 1, s[4:5]
	s_mov_b64 s[36:37], 0
	s_lshl_b64 s[44:45], s[28:29], 3
	s_lshl_b64 s[46:47], s[28:29], 8
	;; [unrolled: 1-line block ×5, first 2 shown]
	v_add_u32_e32 v10, v22, v39
	v_cmp_ne_u32_e64 s[4:5], 1, v21
	s_branch .LBB5_12
.LBB5_11:                               ;   in Loop: Header=BB5_12 Depth=1
	s_or_b64 exec, exec, s[8:9]
	v_mov_b32_e32 v21, s47
	v_add_co_u32_e32 v15, vcc, s46, v15
	s_add_u32 s36, s36, 32
	v_addc_co_u32_e32 v16, vcc, v16, v21, vcc
	v_mov_b32_e32 v21, s28
	s_addc_u32 s37, s37, 0
	v_mov_b32_e32 v22, s29
	v_add_co_u32_e32 v19, vcc, 0x100, v19
	v_cmp_lt_i64_e64 s[8:9], s[36:37], v[21:22]
	v_addc_co_u32_e32 v20, vcc, 0, v20, vcc
	s_and_b64 vcc, exec, s[8:9]
	s_cbranch_vccz .LBB5_45
.LBB5_12:                               ; =>This Loop Header: Depth=1
                                        ;     Child Loop BB5_15 Depth 2
                                        ;       Child Loop BB5_17 Depth 3
	v_mov_b32_e32 v22, s37
	v_add_co_u32_e32 v21, vcc, s36, v0
	v_addc_co_u32_e32 v22, vcc, 0, v22, vcc
	v_cmp_gt_i64_e64 s[8:9], s[28:29], v[21:22]
	s_and_b64 vcc, exec, s[4:5]
	s_cbranch_vccnz .LBB5_35
; %bb.13:                               ;   in Loop: Header=BB5_12 Depth=1
	v_mov_b32_e32 v31, 0
	v_mov_b32_e32 v24, v20
	;; [unrolled: 1-line block ×3, first 2 shown]
	s_mov_b64 s[18:19], 0
	v_mov_b32_e32 v32, 0
	v_mov_b32_e32 v23, v19
	;; [unrolled: 1-line block ×3, first 2 shown]
	s_branch .LBB5_15
.LBB5_14:                               ;   in Loop: Header=BB5_15 Depth=2
	v_mov_b32_e32 v27, s49
	v_add_co_u32_e32 v25, vcc, s48, v25
	s_add_u32 s18, s18, 1
	v_addc_co_u32_e32 v26, vcc, v26, v27, vcc
	s_addc_u32 s19, s19, 0
	v_add_co_u32_e32 v23, vcc, s48, v23
	s_cmp_eq_u64 s[18:19], s[30:31]
	v_addc_co_u32_e32 v24, vcc, v24, v27, vcc
	s_cbranch_scc1 .LBB5_36
.LBB5_15:                               ;   Parent Loop BB5_12 Depth=1
                                        ; =>  This Loop Header: Depth=2
                                        ;       Child Loop BB5_17 Depth 3
	s_mul_i32 s10, s18, s13
	s_mul_hi_u32 s11, s18, s12
	s_add_i32 s10, s11, s10
	s_mul_i32 s11, s19, s12
	s_add_i32 s11, s10, s11
	s_mul_i32 s10, s18, s12
	s_add_u32 s10, s10, s6
	s_addc_u32 s11, s11, 0
	s_lshl_b64 s[10:11], s[10:11], 3
	s_add_u32 s10, s16, s10
	s_addc_u32 s11, s17, s11
	s_load_dwordx2 s[10:11], s[10:11], 0x0
	v_mov_b32_e32 v29, s28
	v_mov_b32_e32 v36, v26
	;; [unrolled: 1-line block ×3, first 2 shown]
	s_waitcnt lgkmcnt(0)
	s_sub_u32 s10, s10, s7
	v_mov_b32_e32 v27, s10
	v_mad_u64_u32 v[29:30], s[52:53], s10, v29, v[0:1]
	s_subb_u32 s11, s11, 0
	v_mad_u64_u32 v[27:28], s[52:53], s44, v27, v[13:14]
	s_mul_i32 s33, s45, s10
	v_cmp_gt_i64_e64 s[50:51], s[10:11], -1
	s_mul_i32 s52, s11, s28
	s_mul_i32 s10, s10, s29
	s_add_i32 s10, s10, s52
	v_add_u32_e32 v30, s10, v30
	v_mul_lo_u32 v33, s20, v30
	v_mul_lo_u32 v34, s21, v29
	v_mad_u64_u32 v[29:30], s[52:53], s20, v29, v[17:18]
	s_mul_i32 s10, s44, s11
	s_add_i32 s10, s10, s33
	v_add3_u32 v30, v34, v30, v33
	v_mov_b32_e32 v34, v24
	v_add_u32_e32 v28, s10, v28
	v_mov_b32_e32 v33, v23
	s_mov_b64 s[52:53], 0
	s_branch .LBB5_17
.LBB5_16:                               ;   in Loop: Header=BB5_17 Depth=3
	v_add_co_u32_e32 v27, vcc, 0x100, v27
	v_addc_co_u32_e32 v28, vcc, 0, v28, vcc
	v_add_co_u32_e32 v35, vcc, 0x100, v35
	v_addc_co_u32_e32 v36, vcc, 0, v36, vcc
	v_mov_b32_e32 v37, s23
	v_add_co_u32_e32 v29, vcc, s22, v29
	s_add_u32 s52, s52, 32
	v_addc_co_u32_e32 v30, vcc, v30, v37, vcc
	v_mov_b32_e32 v38, s29
	s_addc_u32 s53, s53, 0
	v_mov_b32_e32 v37, s28
	v_cmp_ge_i64_e32 vcc, s[52:53], v[37:38]
	v_mov_b32_e32 v40, s47
	v_add_co_u32_e64 v33, s[10:11], s46, v33
	v_addc_co_u32_e64 v34, s[10:11], v34, v40, s[10:11]
	s_barrier
	s_cbranch_vccnz .LBB5_14
.LBB5_17:                               ;   Parent Loop BB5_12 Depth=1
                                        ;     Parent Loop BB5_15 Depth=2
                                        ; =>    This Inner Loop Header: Depth=3
	v_mov_b32_e32 v38, s53
	v_add_co_u32_e32 v37, vcc, s52, v0
	v_addc_co_u32_e32 v38, vcc, 0, v38, vcc
	v_cmp_gt_i64_e32 vcc, s[28:29], v[37:38]
	s_mov_b64 s[54:55], -1
	s_and_b64 s[10:11], s[0:1], vcc
	s_and_b64 s[10:11], s[10:11], s[50:51]
	s_and_b64 vcc, exec, s[42:43]
                                        ; implicit-def: $vgpr37_vgpr38
	s_cbranch_vccz .LBB5_21
; %bb.18:                               ;   in Loop: Header=BB5_17 Depth=3
	v_mov_b32_e32 v37, 0
	v_mov_b32_e32 v38, 0
	s_and_saveexec_b64 s[54:55], s[10:11]
	s_cbranch_execz .LBB5_20
; %bb.19:                               ;   in Loop: Header=BB5_17 Depth=3
	global_load_dwordx2 v[37:38], v[29:30], off
.LBB5_20:                               ;   in Loop: Header=BB5_17 Depth=3
	s_or_b64 exec, exec, s[54:55]
	s_mov_b64 s[54:55], 0
.LBB5_21:                               ;   in Loop: Header=BB5_17 Depth=3
	s_andn2_b64 vcc, exec, s[54:55]
	s_cbranch_vccnz .LBB5_25
; %bb.22:                               ;   in Loop: Header=BB5_17 Depth=3
	s_waitcnt vmcnt(0)
	v_mov_b32_e32 v37, 0
	v_mov_b32_e32 v38, 0
	s_and_saveexec_b64 s[54:55], s[10:11]
	s_cbranch_execz .LBB5_24
; %bb.23:                               ;   in Loop: Header=BB5_17 Depth=3
	global_load_dwordx2 v[37:38], v[27:28], off
.LBB5_24:                               ;   in Loop: Header=BB5_17 Depth=3
	s_or_b64 exec, exec, s[54:55]
.LBB5_25:                               ;   in Loop: Header=BB5_17 Depth=3
	v_mov_b32_e32 v41, s53
	v_add_co_u32_e32 v40, vcc, s52, v2
	v_addc_co_u32_e32 v41, vcc, 0, v41, vcc
	v_cmp_gt_i64_e32 vcc, s[28:29], v[40:41]
	s_waitcnt vmcnt(0)
	ds_write_b64 v10, v[37:38]
	s_and_b64 s[10:11], s[8:9], vcc
	s_and_b64 s[10:11], s[10:11], s[50:51]
	s_and_b64 vcc, exec, s[14:15]
	s_cbranch_vccz .LBB5_29
; %bb.26:                               ;   in Loop: Header=BB5_17 Depth=3
	v_mov_b32_e32 v37, 0
	v_mov_b32_e32 v38, 0
	s_and_saveexec_b64 s[54:55], s[10:11]
	s_cbranch_execz .LBB5_28
; %bb.27:                               ;   in Loop: Header=BB5_17 Depth=3
	global_load_dwordx2 v[37:38], v[33:34], off
.LBB5_28:                               ;   in Loop: Header=BB5_17 Depth=3
	s_or_b64 exec, exec, s[54:55]
	s_cbranch_execz .LBB5_30
	s_branch .LBB5_33
.LBB5_29:                               ;   in Loop: Header=BB5_17 Depth=3
                                        ; implicit-def: $vgpr37_vgpr38
.LBB5_30:                               ;   in Loop: Header=BB5_17 Depth=3
	s_waitcnt vmcnt(0)
	v_mov_b32_e32 v37, 0
	v_mov_b32_e32 v38, 0
	s_and_saveexec_b64 s[54:55], s[10:11]
	s_cbranch_execz .LBB5_32
; %bb.31:                               ;   in Loop: Header=BB5_17 Depth=3
	global_load_dwordx2 v[37:38], v[35:36], off
.LBB5_32:                               ;   in Loop: Header=BB5_17 Depth=3
	s_or_b64 exec, exec, s[54:55]
.LBB5_33:                               ;   in Loop: Header=BB5_17 Depth=3
	v_add_u32_e32 v40, v9, v39
	s_andn2_b64 vcc, exec, s[50:51]
	s_waitcnt vmcnt(0)
	ds_write_b64 v40, v[37:38]
	s_waitcnt lgkmcnt(0)
	s_barrier
	s_cbranch_vccnz .LBB5_16
; %bb.34:                               ;   in Loop: Header=BB5_17 Depth=3
	ds_read2_b64 v[40:43], v9 offset1:32
	ds_read_b128 v[44:47], v39 offset:8192
	ds_read_b128 v[48:51], v39 offset:8208
	v_add_u32_e32 v37, 0x800, v9
	s_waitcnt lgkmcnt(1)
	v_fma_f64 v[31:32], v[40:41], v[44:45], v[31:32]
	v_fma_f64 v[31:32], v[42:43], v[46:47], v[31:32]
	ds_read2_b64 v[40:43], v9 offset0:64 offset1:96
	s_waitcnt lgkmcnt(0)
	v_fma_f64 v[31:32], v[40:41], v[48:49], v[31:32]
	v_fma_f64 v[31:32], v[42:43], v[50:51], v[31:32]
	ds_read2_b64 v[40:43], v9 offset0:128 offset1:160
	ds_read_b128 v[44:47], v39 offset:8224
	ds_read_b128 v[48:51], v39 offset:8240
	s_waitcnt lgkmcnt(1)
	v_fma_f64 v[31:32], v[40:41], v[44:45], v[31:32]
	v_fma_f64 v[31:32], v[42:43], v[46:47], v[31:32]
	ds_read2_b64 v[40:43], v9 offset0:192 offset1:224
	s_waitcnt lgkmcnt(0)
	v_fma_f64 v[31:32], v[40:41], v[48:49], v[31:32]
	v_fma_f64 v[31:32], v[42:43], v[50:51], v[31:32]
	ds_read2_b64 v[40:43], v37 offset1:32
	ds_read_b128 v[44:47], v39 offset:8256
	ds_read_b128 v[48:51], v39 offset:8272
	s_waitcnt lgkmcnt(1)
	v_fma_f64 v[31:32], v[40:41], v[44:45], v[31:32]
	v_fma_f64 v[31:32], v[42:43], v[46:47], v[31:32]
	ds_read2_b64 v[40:43], v37 offset0:64 offset1:96
	s_waitcnt lgkmcnt(0)
	v_fma_f64 v[31:32], v[40:41], v[48:49], v[31:32]
	v_fma_f64 v[31:32], v[42:43], v[50:51], v[31:32]
	ds_read2_b64 v[40:43], v37 offset0:128 offset1:160
	ds_read_b128 v[44:47], v39 offset:8288
	ds_read_b128 v[48:51], v39 offset:8304
	s_waitcnt lgkmcnt(1)
	v_fma_f64 v[31:32], v[40:41], v[44:45], v[31:32]
	v_fma_f64 v[31:32], v[42:43], v[46:47], v[31:32]
	ds_read2_b64 v[40:43], v37 offset0:192 offset1:224
	v_add_u32_e32 v37, 0x1000, v9
	s_waitcnt lgkmcnt(0)
	v_fma_f64 v[31:32], v[40:41], v[48:49], v[31:32]
	v_fma_f64 v[31:32], v[42:43], v[50:51], v[31:32]
	ds_read2_b64 v[40:43], v37 offset1:32
	ds_read_b128 v[44:47], v39 offset:8320
	ds_read_b128 v[48:51], v39 offset:8336
	s_waitcnt lgkmcnt(1)
	v_fma_f64 v[31:32], v[40:41], v[44:45], v[31:32]
	v_fma_f64 v[31:32], v[42:43], v[46:47], v[31:32]
	ds_read2_b64 v[40:43], v37 offset0:64 offset1:96
	s_waitcnt lgkmcnt(0)
	v_fma_f64 v[31:32], v[40:41], v[48:49], v[31:32]
	v_fma_f64 v[31:32], v[42:43], v[50:51], v[31:32]
	ds_read2_b64 v[40:43], v37 offset0:128 offset1:160
	ds_read_b128 v[44:47], v39 offset:8352
	ds_read_b128 v[48:51], v39 offset:8368
	s_waitcnt lgkmcnt(1)
	v_fma_f64 v[31:32], v[40:41], v[44:45], v[31:32]
	v_fma_f64 v[31:32], v[42:43], v[46:47], v[31:32]
	ds_read2_b64 v[40:43], v37 offset0:192 offset1:224
	v_add_u32_e32 v37, 0x1800, v9
	s_waitcnt lgkmcnt(0)
	v_fma_f64 v[31:32], v[40:41], v[48:49], v[31:32]
	v_fma_f64 v[31:32], v[42:43], v[50:51], v[31:32]
	ds_read2_b64 v[40:43], v37 offset1:32
	ds_read_b128 v[44:47], v39 offset:8384
	ds_read_b128 v[48:51], v39 offset:8400
	s_waitcnt lgkmcnt(1)
	v_fma_f64 v[31:32], v[40:41], v[44:45], v[31:32]
	v_fma_f64 v[31:32], v[42:43], v[46:47], v[31:32]
	ds_read2_b64 v[40:43], v37 offset0:64 offset1:96
	s_waitcnt lgkmcnt(0)
	v_fma_f64 v[31:32], v[40:41], v[48:49], v[31:32]
	v_fma_f64 v[31:32], v[42:43], v[50:51], v[31:32]
	ds_read2_b64 v[40:43], v37 offset0:128 offset1:160
	ds_read_b128 v[44:47], v39 offset:8416
	ds_read_b128 v[48:51], v39 offset:8432
	s_waitcnt lgkmcnt(1)
	v_fma_f64 v[31:32], v[40:41], v[44:45], v[31:32]
	v_fma_f64 v[31:32], v[42:43], v[46:47], v[31:32]
	ds_read2_b64 v[40:43], v37 offset0:192 offset1:224
	s_waitcnt lgkmcnt(0)
	v_fma_f64 v[31:32], v[40:41], v[48:49], v[31:32]
	v_fma_f64 v[31:32], v[42:43], v[50:51], v[31:32]
	s_branch .LBB5_16
.LBB5_35:                               ;   in Loop: Header=BB5_12 Depth=1
	v_mov_b32_e32 v31, 0
	v_mov_b32_e32 v32, 0
.LBB5_36:                               ;   in Loop: Header=BB5_12 Depth=1
	v_mov_b32_e32 v23, s35
	v_add_co_u32_e32 v25, vcc, s34, v21
	v_addc_co_u32_e32 v26, vcc, v22, v23, vcc
	s_mov_b64 s[8:9], -1
	s_and_b64 vcc, exec, s[38:39]
                                        ; implicit-def: $vgpr23_vgpr24
	s_cbranch_vccnz .LBB5_39
; %bb.37:                               ;   in Loop: Header=BB5_12 Depth=1
	s_andn2_b64 vcc, exec, s[8:9]
	s_cbranch_vccz .LBB5_40
.LBB5_38:                               ;   in Loop: Header=BB5_12 Depth=1
	v_cmp_gt_i64_e32 vcc, s[28:29], v[21:22]
	s_and_b64 s[10:11], s[40:41], vcc
	s_and_saveexec_b64 s[8:9], s[10:11]
	s_cbranch_execz .LBB5_11
	s_branch .LBB5_41
.LBB5_39:                               ;   in Loop: Header=BB5_12 Depth=1
	v_mad_u64_u32 v[23:24], s[8:9], v25, s26, v[7:8]
	v_mul_lo_u32 v27, v25, s27
	v_mul_lo_u32 v28, v26, s26
	v_add3_u32 v24, v28, v24, v27
	s_cbranch_execnz .LBB5_38
.LBB5_40:                               ;   in Loop: Header=BB5_12 Depth=1
	v_add_co_u32_e32 v23, vcc, v25, v11
	v_addc_co_u32_e32 v24, vcc, v26, v12, vcc
	v_cmp_gt_i64_e32 vcc, s[28:29], v[21:22]
	s_and_b64 s[10:11], s[40:41], vcc
	s_and_saveexec_b64 s[8:9], s[10:11]
	s_cbranch_execz .LBB5_11
.LBB5_41:                               ;   in Loop: Header=BB5_12 Depth=1
	v_mul_f64 v[21:22], v[3:4], v[31:32]
	v_lshlrev_b64 v[23:24], 3, v[23:24]
	s_and_saveexec_b64 s[10:11], s[2:3]
	s_xor_b64 s[10:11], exec, s[10:11]
	s_cbranch_execz .LBB5_43
; %bb.42:                               ;   in Loop: Header=BB5_12 Depth=1
	v_mov_b32_e32 v25, s25
	v_add_co_u32_e32 v23, vcc, s24, v23
	v_addc_co_u32_e32 v24, vcc, v25, v24, vcc
	global_load_dwordx2 v[25:26], v[23:24], off
	s_waitcnt vmcnt(0)
	v_fma_f64 v[21:22], v[5:6], v[25:26], v[21:22]
	global_store_dwordx2 v[23:24], v[21:22], off
                                        ; implicit-def: $vgpr23_vgpr24
                                        ; implicit-def: $vgpr21_vgpr22
.LBB5_43:                               ;   in Loop: Header=BB5_12 Depth=1
	s_andn2_saveexec_b64 s[10:11], s[10:11]
	s_cbranch_execz .LBB5_11
; %bb.44:                               ;   in Loop: Header=BB5_12 Depth=1
	v_mov_b32_e32 v25, s25
	v_add_co_u32_e32 v23, vcc, s24, v23
	v_addc_co_u32_e32 v24, vcc, v25, v24, vcc
	global_store_dwordx2 v[23:24], v[21:22], off
	s_branch .LBB5_11
.LBB5_45:
	s_endpgm
.LBB5_46:
                                        ; implicit-def: $sgpr30_sgpr31
	s_branch .LBB5_8
	.section	.rodata,"a",@progbits
	.p2align	6, 0x0
	.amdhsa_kernel _ZN9rocsparseL30bellmm_general_blockdim_kernelILi32ELi32EdldddEEv20rocsparse_operation_S1_20rocsparse_direction_T2_S3_NS_24const_host_device_scalarIT1_EES3_S3_PKS3_PKT3_PKT4_l16rocsparse_order_S6_PT5_lSF_21rocsparse_index_base_b
		.amdhsa_group_segment_fixed_size 16384
		.amdhsa_private_segment_fixed_size 0
		.amdhsa_kernarg_size 132
		.amdhsa_user_sgpr_count 6
		.amdhsa_user_sgpr_private_segment_buffer 1
		.amdhsa_user_sgpr_dispatch_ptr 0
		.amdhsa_user_sgpr_queue_ptr 0
		.amdhsa_user_sgpr_kernarg_segment_ptr 1
		.amdhsa_user_sgpr_dispatch_id 0
		.amdhsa_user_sgpr_flat_scratch_init 0
		.amdhsa_user_sgpr_private_segment_size 0
		.amdhsa_uses_dynamic_stack 0
		.amdhsa_system_sgpr_private_segment_wavefront_offset 0
		.amdhsa_system_sgpr_workgroup_id_x 1
		.amdhsa_system_sgpr_workgroup_id_y 1
		.amdhsa_system_sgpr_workgroup_id_z 0
		.amdhsa_system_sgpr_workgroup_info 0
		.amdhsa_system_vgpr_workitem_id 1
		.amdhsa_next_free_vgpr 52
		.amdhsa_next_free_sgpr 61
		.amdhsa_reserve_vcc 1
		.amdhsa_reserve_flat_scratch 0
		.amdhsa_float_round_mode_32 0
		.amdhsa_float_round_mode_16_64 0
		.amdhsa_float_denorm_mode_32 3
		.amdhsa_float_denorm_mode_16_64 3
		.amdhsa_dx10_clamp 1
		.amdhsa_ieee_mode 1
		.amdhsa_fp16_overflow 0
		.amdhsa_exception_fp_ieee_invalid_op 0
		.amdhsa_exception_fp_denorm_src 0
		.amdhsa_exception_fp_ieee_div_zero 0
		.amdhsa_exception_fp_ieee_overflow 0
		.amdhsa_exception_fp_ieee_underflow 0
		.amdhsa_exception_fp_ieee_inexact 0
		.amdhsa_exception_int_div_zero 0
	.end_amdhsa_kernel
	.section	.text._ZN9rocsparseL30bellmm_general_blockdim_kernelILi32ELi32EdldddEEv20rocsparse_operation_S1_20rocsparse_direction_T2_S3_NS_24const_host_device_scalarIT1_EES3_S3_PKS3_PKT3_PKT4_l16rocsparse_order_S6_PT5_lSF_21rocsparse_index_base_b,"axG",@progbits,_ZN9rocsparseL30bellmm_general_blockdim_kernelILi32ELi32EdldddEEv20rocsparse_operation_S1_20rocsparse_direction_T2_S3_NS_24const_host_device_scalarIT1_EES3_S3_PKS3_PKT3_PKT4_l16rocsparse_order_S6_PT5_lSF_21rocsparse_index_base_b,comdat
.Lfunc_end5:
	.size	_ZN9rocsparseL30bellmm_general_blockdim_kernelILi32ELi32EdldddEEv20rocsparse_operation_S1_20rocsparse_direction_T2_S3_NS_24const_host_device_scalarIT1_EES3_S3_PKS3_PKT3_PKT4_l16rocsparse_order_S6_PT5_lSF_21rocsparse_index_base_b, .Lfunc_end5-_ZN9rocsparseL30bellmm_general_blockdim_kernelILi32ELi32EdldddEEv20rocsparse_operation_S1_20rocsparse_direction_T2_S3_NS_24const_host_device_scalarIT1_EES3_S3_PKS3_PKT3_PKT4_l16rocsparse_order_S6_PT5_lSF_21rocsparse_index_base_b
                                        ; -- End function
	.set _ZN9rocsparseL30bellmm_general_blockdim_kernelILi32ELi32EdldddEEv20rocsparse_operation_S1_20rocsparse_direction_T2_S3_NS_24const_host_device_scalarIT1_EES3_S3_PKS3_PKT3_PKT4_l16rocsparse_order_S6_PT5_lSF_21rocsparse_index_base_b.num_vgpr, 52
	.set _ZN9rocsparseL30bellmm_general_blockdim_kernelILi32ELi32EdldddEEv20rocsparse_operation_S1_20rocsparse_direction_T2_S3_NS_24const_host_device_scalarIT1_EES3_S3_PKS3_PKT3_PKT4_l16rocsparse_order_S6_PT5_lSF_21rocsparse_index_base_b.num_agpr, 0
	.set _ZN9rocsparseL30bellmm_general_blockdim_kernelILi32ELi32EdldddEEv20rocsparse_operation_S1_20rocsparse_direction_T2_S3_NS_24const_host_device_scalarIT1_EES3_S3_PKS3_PKT3_PKT4_l16rocsparse_order_S6_PT5_lSF_21rocsparse_index_base_b.numbered_sgpr, 56
	.set _ZN9rocsparseL30bellmm_general_blockdim_kernelILi32ELi32EdldddEEv20rocsparse_operation_S1_20rocsparse_direction_T2_S3_NS_24const_host_device_scalarIT1_EES3_S3_PKS3_PKT3_PKT4_l16rocsparse_order_S6_PT5_lSF_21rocsparse_index_base_b.num_named_barrier, 0
	.set _ZN9rocsparseL30bellmm_general_blockdim_kernelILi32ELi32EdldddEEv20rocsparse_operation_S1_20rocsparse_direction_T2_S3_NS_24const_host_device_scalarIT1_EES3_S3_PKS3_PKT3_PKT4_l16rocsparse_order_S6_PT5_lSF_21rocsparse_index_base_b.private_seg_size, 0
	.set _ZN9rocsparseL30bellmm_general_blockdim_kernelILi32ELi32EdldddEEv20rocsparse_operation_S1_20rocsparse_direction_T2_S3_NS_24const_host_device_scalarIT1_EES3_S3_PKS3_PKT3_PKT4_l16rocsparse_order_S6_PT5_lSF_21rocsparse_index_base_b.uses_vcc, 1
	.set _ZN9rocsparseL30bellmm_general_blockdim_kernelILi32ELi32EdldddEEv20rocsparse_operation_S1_20rocsparse_direction_T2_S3_NS_24const_host_device_scalarIT1_EES3_S3_PKS3_PKT3_PKT4_l16rocsparse_order_S6_PT5_lSF_21rocsparse_index_base_b.uses_flat_scratch, 0
	.set _ZN9rocsparseL30bellmm_general_blockdim_kernelILi32ELi32EdldddEEv20rocsparse_operation_S1_20rocsparse_direction_T2_S3_NS_24const_host_device_scalarIT1_EES3_S3_PKS3_PKT3_PKT4_l16rocsparse_order_S6_PT5_lSF_21rocsparse_index_base_b.has_dyn_sized_stack, 0
	.set _ZN9rocsparseL30bellmm_general_blockdim_kernelILi32ELi32EdldddEEv20rocsparse_operation_S1_20rocsparse_direction_T2_S3_NS_24const_host_device_scalarIT1_EES3_S3_PKS3_PKT3_PKT4_l16rocsparse_order_S6_PT5_lSF_21rocsparse_index_base_b.has_recursion, 0
	.set _ZN9rocsparseL30bellmm_general_blockdim_kernelILi32ELi32EdldddEEv20rocsparse_operation_S1_20rocsparse_direction_T2_S3_NS_24const_host_device_scalarIT1_EES3_S3_PKS3_PKT3_PKT4_l16rocsparse_order_S6_PT5_lSF_21rocsparse_index_base_b.has_indirect_call, 0
	.section	.AMDGPU.csdata,"",@progbits
; Kernel info:
; codeLenInByte = 2852
; TotalNumSgprs: 60
; NumVgprs: 52
; ScratchSize: 0
; MemoryBound: 0
; FloatMode: 240
; IeeeMode: 1
; LDSByteSize: 16384 bytes/workgroup (compile time only)
; SGPRBlocks: 8
; VGPRBlocks: 12
; NumSGPRsForWavesPerEU: 65
; NumVGPRsForWavesPerEU: 52
; Occupancy: 4
; WaveLimiterHint : 1
; COMPUTE_PGM_RSRC2:SCRATCH_EN: 0
; COMPUTE_PGM_RSRC2:USER_SGPR: 6
; COMPUTE_PGM_RSRC2:TRAP_HANDLER: 0
; COMPUTE_PGM_RSRC2:TGID_X_EN: 1
; COMPUTE_PGM_RSRC2:TGID_Y_EN: 1
; COMPUTE_PGM_RSRC2:TGID_Z_EN: 0
; COMPUTE_PGM_RSRC2:TIDIG_COMP_CNT: 1
	.section	.text._ZN9rocsparseL30bellmm_general_blockdim_kernelILi32ELi32E21rocsparse_complex_numIfEiS2_S2_S2_EEv20rocsparse_operation_S3_20rocsparse_direction_T2_S5_NS_24const_host_device_scalarIT1_EES5_S5_PKS5_PKT3_PKT4_l16rocsparse_order_S8_PT5_lSH_21rocsparse_index_base_b,"axG",@progbits,_ZN9rocsparseL30bellmm_general_blockdim_kernelILi32ELi32E21rocsparse_complex_numIfEiS2_S2_S2_EEv20rocsparse_operation_S3_20rocsparse_direction_T2_S5_NS_24const_host_device_scalarIT1_EES5_S5_PKS5_PKT3_PKT4_l16rocsparse_order_S8_PT5_lSH_21rocsparse_index_base_b,comdat
	.globl	_ZN9rocsparseL30bellmm_general_blockdim_kernelILi32ELi32E21rocsparse_complex_numIfEiS2_S2_S2_EEv20rocsparse_operation_S3_20rocsparse_direction_T2_S5_NS_24const_host_device_scalarIT1_EES5_S5_PKS5_PKT3_PKT4_l16rocsparse_order_S8_PT5_lSH_21rocsparse_index_base_b ; -- Begin function _ZN9rocsparseL30bellmm_general_blockdim_kernelILi32ELi32E21rocsparse_complex_numIfEiS2_S2_S2_EEv20rocsparse_operation_S3_20rocsparse_direction_T2_S5_NS_24const_host_device_scalarIT1_EES5_S5_PKS5_PKT3_PKT4_l16rocsparse_order_S8_PT5_lSH_21rocsparse_index_base_b
	.p2align	8
	.type	_ZN9rocsparseL30bellmm_general_blockdim_kernelILi32ELi32E21rocsparse_complex_numIfEiS2_S2_S2_EEv20rocsparse_operation_S3_20rocsparse_direction_T2_S5_NS_24const_host_device_scalarIT1_EES5_S5_PKS5_PKT3_PKT4_l16rocsparse_order_S8_PT5_lSH_21rocsparse_index_base_b,@function
_ZN9rocsparseL30bellmm_general_blockdim_kernelILi32ELi32E21rocsparse_complex_numIfEiS2_S2_S2_EEv20rocsparse_operation_S3_20rocsparse_direction_T2_S5_NS_24const_host_device_scalarIT1_EES5_S5_PKS5_PKT3_PKT4_l16rocsparse_order_S8_PT5_lSH_21rocsparse_index_base_b: ; @_ZN9rocsparseL30bellmm_general_blockdim_kernelILi32ELi32E21rocsparse_complex_numIfEiS2_S2_S2_EEv20rocsparse_operation_S3_20rocsparse_direction_T2_S5_NS_24const_host_device_scalarIT1_EES5_S5_PKS5_PKT3_PKT4_l16rocsparse_order_S8_PT5_lSH_21rocsparse_index_base_b
; %bb.0:
	s_load_dwordx2 s[0:1], s[4:5], 0x18
	s_load_dwordx2 s[2:3], s[4:5], 0x50
	s_load_dwordx4 s[16:19], s[4:5], 0x68
	s_add_u32 s8, s4, 24
	s_addc_u32 s9, s5, 0
	s_add_u32 s10, s4, 0x50
	s_addc_u32 s11, s5, 0
	s_waitcnt lgkmcnt(0)
	s_bitcmp1_b32 s18, 0
	s_cselect_b32 s1, s9, s1
	s_cselect_b32 s0, s8, s0
	v_mov_b32_e32 v2, s0
	v_mov_b32_e32 v3, s1
	flat_load_dwordx2 v[22:23], v[2:3]
	s_cselect_b32 s0, s11, s3
	s_cselect_b32 s1, s10, s2
	v_mov_b32_e32 v2, s1
	v_mov_b32_e32 v3, s0
	flat_load_dwordx2 v[24:25], v[2:3]
	s_waitcnt vmcnt(0) lgkmcnt(0)
	v_cmp_eq_f32_e32 vcc, 0, v22
	v_cmp_eq_f32_e64 s[0:1], 0, v23
	s_and_b64 s[8:9], vcc, s[0:1]
	s_mov_b64 s[0:1], -1
	s_and_saveexec_b64 s[2:3], s[8:9]
; %bb.1:
	v_cmp_neq_f32_e32 vcc, 1.0, v24
	v_cmp_neq_f32_e64 s[0:1], 0, v25
	s_or_b64 s[0:1], vcc, s[0:1]
	s_orn2_b64 s[0:1], s[0:1], exec
; %bb.2:
	s_or_b64 exec, exec, s[2:3]
	s_and_saveexec_b64 s[2:3], s[0:1]
	s_cbranch_execz .LBB6_56
; %bb.3:
	s_load_dwordx4 s[20:23], s[4:5], 0x0
	s_load_dwordx2 s[18:19], s[4:5], 0x20
	s_mov_b32 s33, 0
	s_waitcnt lgkmcnt(0)
	s_cmp_lt_i32 s6, s23
	s_cselect_b64 s[2:3], -1, 0
	s_cmp_ge_i32 s6, s23
	s_cbranch_scc1 .LBB6_5
; %bb.4:
	s_abs_i32 s0, s19
	v_cvt_f32_u32_e32 v2, s0
	s_sub_i32 s9, 0, s0
	s_abs_i32 s8, s18
	s_xor_b32 s1, s18, s19
	v_rcp_iflag_f32_e32 v2, v2
	s_ashr_i32 s1, s1, 31
	v_mul_f32_e32 v2, 0x4f7ffffe, v2
	v_cvt_u32_f32_e32 v2, v2
	v_readfirstlane_b32 s10, v2
	s_mul_i32 s9, s9, s10
	s_mul_hi_u32 s9, s10, s9
	s_add_i32 s10, s10, s9
	s_mul_hi_u32 s9, s8, s10
	s_mul_i32 s10, s9, s0
	s_sub_i32 s8, s8, s10
	s_add_i32 s11, s9, 1
	s_sub_i32 s10, s8, s0
	s_cmp_ge_u32 s8, s0
	s_cselect_b32 s9, s11, s9
	s_cselect_b32 s8, s10, s8
	s_add_i32 s10, s9, 1
	s_cmp_ge_u32 s8, s0
	s_cselect_b32 s0, s10, s9
	s_xor_b32 s0, s0, s1
	s_sub_i32 s33, s0, s1
.LBB6_5:
	s_cmp_lt_i32 s19, 1
	s_cbranch_scc1 .LBB6_56
; %bb.6:
	s_load_dwordx8 s[8:15], s[4:5], 0x28
	v_lshl_add_u32 v26, s7, 5, v1
	v_ashrrev_i32_e32 v27, 31, v26
	s_cmp_gt_i32 s33, 0
	s_mul_i32 s7, s19, s6
	s_waitcnt lgkmcnt(0)
	v_mul_lo_u32 v4, s14, v27
	v_mul_lo_u32 v5, s15, v26
	v_mad_u64_u32 v[2:3], s[0:1], s14, v26, 0
	s_load_dword s0, s[4:5], 0x10
	s_load_dwordx4 s[24:27], s[4:5], 0x58
	s_load_dword s28, s[4:5], 0x48
	s_cselect_b64 s[4:5], -1, 0
	v_add3_u32 v3, v3, v4, v5
	v_lshlrev_b64 v[4:5], 3, v[26:27]
	s_cmpk_eq_i32 s21, 0x6f
	v_mov_b32_e32 v6, s13
	v_add_co_u32_e32 v36, vcc, s12, v4
	s_cselect_b64 s[40:41], -1, 0
	s_waitcnt lgkmcnt(0)
	s_cmp_lg_u32 s28, 1
	v_lshlrev_b64 v[2:3], 3, v[2:3]
	v_addc_co_u32_e32 v37, vcc, v6, v5, vcc
	s_cselect_b64 s[42:43], -1, 0
	s_cmp_lg_u32 s22, 0
	v_mov_b32_e32 v5, s13
	v_add_co_u32_e32 v40, vcc, s12, v2
	s_cselect_b64 s[12:13], -1, 0
	s_cmpk_eq_i32 s21, 0x71
	s_cselect_b64 s[30:31], -1, 0
	s_cmpk_lg_i32 s21, 0x71
	s_cselect_b64 s[28:29], -1, 0
	s_cmpk_lg_i32 s20, 0x71
	s_cselect_b64 s[34:35], -1, 0
	v_addc_co_u32_e32 v41, vcc, v5, v3, vcc
	s_or_b64 s[20:21], s[34:35], s[28:29]
	s_and_b64 s[28:29], s[34:35], s[30:31]
	s_or_b64 s[30:31], s[34:35], s[30:31]
	v_mul_lo_u32 v2, s26, v27
	v_mul_lo_u32 v3, s27, v26
	v_mad_u64_u32 v[28:29], s[34:35], s26, v26, 0
	s_xor_b64 s[28:29], s[28:29], -1
	v_cmp_gt_i32_e64 s[0:1], s0, v26
	v_add3_u32 v29, v29, v2, v3
	v_add_u32_e32 v2, s7, v1
	s_cmp_lg_u32 s16, 1
	v_mul_lo_u32 v43, s19, v2
	v_lshlrev_b32_e32 v38, 3, v0
	s_cselect_b64 s[34:35], -1, 0
	s_and_b64 s[36:37], s[2:3], s[0:1]
	v_cmp_neq_f32_e32 vcc, 0, v24
	v_cmp_neq_f32_e64 s[2:3], 0, v25
	v_or_b32_e32 v4, 0x2000, v38
	v_lshlrev_b32_e32 v39, 8, v1
	s_or_b64 s[38:39], vcc, s[2:3]
	s_xor_b64 s[2:3], s[40:41], s[42:43]
	s_mul_i32 s16, s19, s19
	v_cndmask_b32_e64 v2, 0, 1, s[4:5]
	s_mov_b32 s18, 0
	v_add_u32_e32 v42, 0x2000, v39
	s_xor_b64 s[40:41], s[2:3], -1
	s_mul_i32 s16, s16, s23
	s_lshl_b32 s22, s19, 5
	v_cmp_ne_u32_e64 s[2:3], 1, v2
	v_mov_b32_e32 v31, 0
	v_add_u32_e32 v44, v4, v39
	s_branch .LBB6_8
.LBB6_7:                                ;   in Loop: Header=BB6_8 Depth=1
	s_or_b64 exec, exec, s[4:5]
	s_add_i32 s18, s18, 32
	s_cmp_lt_i32 s18, s19
	v_add_u32_e32 v43, 32, v43
	s_cbranch_scc0 .LBB6_56
.LBB6_8:                                ; =>This Loop Header: Depth=1
                                        ;     Child Loop BB6_11 Depth 2
                                        ;       Child Loop BB6_14 Depth 3
	v_add_u32_e32 v45, s18, v0
	s_and_b64 vcc, exec, s[2:3]
	v_cmp_gt_i32_e64 s[4:5], s19, v45
	v_mov_b32_e32 v50, v31
	v_mov_b32_e32 v51, v31
	s_cbranch_vccnz .LBB6_47
; %bb.9:                                ;   in Loop: Header=BB6_8 Depth=1
	v_mov_b32_e32 v50, 0
	s_mov_b32 s52, 0
	v_mov_b32_e32 v46, v43
	v_mov_b32_e32 v51, 0
	s_branch .LBB6_11
.LBB6_10:                               ;   in Loop: Header=BB6_11 Depth=2
	s_add_i32 s52, s52, 1
	s_cmp_eq_u32 s52, s33
	v_add_u32_e32 v46, s16, v46
	s_cbranch_scc1 .LBB6_47
.LBB6_11:                               ;   Parent Loop BB6_8 Depth=1
                                        ; =>  This Loop Header: Depth=2
                                        ;       Child Loop BB6_14 Depth 3
	s_mul_i32 s42, s52, s23
	s_add_i32 s42, s42, s6
	s_ashr_i32 s43, s42, 31
	s_lshl_b64 s[44:45], s[42:43], 2
	s_add_u32 s44, s8, s44
	s_addc_u32 s45, s9, s45
	s_load_dword s43, s[44:45], 0x0
	s_mul_i32 s42, s42, s19
	v_add_u32_e32 v2, s42, v45
	v_mul_lo_u32 v47, v2, s19
	v_add_u32_e32 v49, v0, v46
	s_waitcnt lgkmcnt(0)
	s_sub_i32 s42, s43, s17
	s_cmp_gt_i32 s42, -1
	s_mul_i32 s44, s42, s19
	s_cselect_b64 s[42:43], -1, 0
	v_add_u32_e32 v48, s44, v0
	s_mov_b32 s53, 0
	s_mov_b32 s54, 0
	s_branch .LBB6_14
.LBB6_12:                               ;   in Loop: Header=BB6_14 Depth=3
	v_mov_b32_e32 v51, v54
	v_mov_b32_e32 v50, v18
.LBB6_13:                               ;   in Loop: Header=BB6_14 Depth=3
	s_add_i32 s54, s54, 32
	s_add_i32 s53, s53, s22
	s_cmp_ge_i32 s54, s19
	s_waitcnt lgkmcnt(0)
	s_barrier
	s_cbranch_scc1 .LBB6_10
.LBB6_14:                               ;   Parent Loop BB6_8 Depth=1
                                        ;     Parent Loop BB6_11 Depth=2
                                        ; =>    This Inner Loop Header: Depth=3
	v_add_u32_e32 v2, s54, v0
	v_cmp_gt_i32_e32 vcc, s19, v2
	s_and_b64 s[44:45], s[0:1], vcc
	s_and_b64 s[46:47], s[44:45], s[42:43]
	s_and_b64 vcc, exec, s[40:41]
	s_cbranch_vccz .LBB6_18
; %bb.15:                               ;   in Loop: Header=BB6_14 Depth=3
	s_mov_b64 s[48:49], 0
	s_mov_b64 s[44:45], 0
                                        ; implicit-def: $vgpr2_vgpr3
	s_and_saveexec_b64 s[50:51], s[46:47]
	s_xor_b64 s[50:51], exec, s[50:51]
	s_cbranch_execz .LBB6_17
; %bb.16:                               ;   in Loop: Header=BB6_14 Depth=3
	v_add_u32_e32 v4, s54, v48
	v_mad_u64_u32 v[2:3], s[56:57], s14, v4, 0
	s_mov_b64 s[44:45], exec
	v_mad_u64_u32 v[3:4], s[56:57], s15, v4, v[3:4]
	v_lshlrev_b64 v[2:3], 3, v[2:3]
	v_add_co_u32_e32 v2, vcc, v36, v2
	v_addc_co_u32_e32 v3, vcc, v37, v3, vcc
.LBB6_17:                               ;   in Loop: Header=BB6_14 Depth=3
	s_or_b64 exec, exec, s[50:51]
	s_and_b64 vcc, exec, s[48:49]
	s_cbranch_vccnz .LBB6_19
	s_branch .LBB6_22
.LBB6_18:                               ;   in Loop: Header=BB6_14 Depth=3
	s_mov_b64 s[44:45], 0
                                        ; implicit-def: $vgpr2_vgpr3
	s_cbranch_execz .LBB6_22
.LBB6_19:                               ;   in Loop: Header=BB6_14 Depth=3
                                        ; implicit-def: $vgpr2_vgpr3
	s_and_saveexec_b64 s[48:49], s[46:47]
; %bb.20:                               ;   in Loop: Header=BB6_14 Depth=3
	v_add_u32_e32 v30, s54, v48
	v_lshlrev_b64 v[2:3], 3, v[30:31]
	s_or_b64 s[44:45], s[44:45], exec
	v_add_co_u32_e32 v2, vcc, v40, v2
	v_addc_co_u32_e32 v3, vcc, v41, v3, vcc
; %bb.21:                               ;   in Loop: Header=BB6_14 Depth=3
	s_or_b64 exec, exec, s[48:49]
.LBB6_22:                               ;   in Loop: Header=BB6_14 Depth=3
	v_mov_b32_e32 v4, 0
	v_mov_b32_e32 v5, 0
	s_and_saveexec_b64 s[46:47], s[44:45]
	s_cbranch_execz .LBB6_24
; %bb.23:                               ;   in Loop: Header=BB6_14 Depth=3
	global_load_dwordx2 v[4:5], v[2:3], off
.LBB6_24:                               ;   in Loop: Header=BB6_14 Depth=3
	s_or_b64 exec, exec, s[46:47]
	v_add_u32_e32 v3, s54, v1
	v_cmp_gt_i32_e32 vcc, s19, v3
	s_and_b64 s[44:45], s[4:5], vcc
	s_and_b64 s[46:47], s[44:45], s[42:43]
	s_and_b64 vcc, exec, s[12:13]
	s_waitcnt vmcnt(0)
	ds_write_b64 v44, v[4:5]
	s_cbranch_vccz .LBB6_43
; %bb.25:                               ;   in Loop: Header=BB6_14 Depth=3
	s_mov_b64 s[48:49], 0
	s_mov_b64 s[44:45], 0
                                        ; implicit-def: $vgpr2
	s_and_saveexec_b64 s[50:51], s[46:47]
	s_xor_b64 s[50:51], exec, s[50:51]
; %bb.26:                               ;   in Loop: Header=BB6_14 Depth=3
	s_mov_b64 s[44:45], exec
	v_add_u32_e32 v2, s53, v49
; %bb.27:                               ;   in Loop: Header=BB6_14 Depth=3
	s_or_b64 exec, exec, s[50:51]
	s_and_b64 vcc, exec, s[48:49]
	s_cbranch_vccnz .LBB6_44
.LBB6_28:                               ;   in Loop: Header=BB6_14 Depth=3
	v_mov_b32_e32 v3, 0
	v_mov_b32_e32 v4, 0
	s_and_saveexec_b64 s[46:47], s[44:45]
	s_cbranch_execz .LBB6_30
.LBB6_29:                               ;   in Loop: Header=BB6_14 Depth=3
	v_ashrrev_i32_e32 v3, 31, v2
	v_lshlrev_b64 v[2:3], 3, v[2:3]
	v_mov_b32_e32 v4, s11
	v_add_co_u32_e32 v2, vcc, s10, v2
	v_addc_co_u32_e32 v3, vcc, v4, v3, vcc
	global_load_dwordx2 v[3:4], v[2:3], off
.LBB6_30:                               ;   in Loop: Header=BB6_14 Depth=3
	s_or_b64 exec, exec, s[46:47]
	v_add_u32_e32 v2, v38, v39
	s_andn2_b64 vcc, exec, s[42:43]
	s_waitcnt vmcnt(0)
	ds_write_b64 v2, v[3:4]
	s_waitcnt lgkmcnt(0)
	s_barrier
	s_cbranch_vccnz .LBB6_13
; %bb.31:                               ;   in Loop: Header=BB6_14 Depth=3
	s_mov_b64 s[44:45], -1
	s_and_b64 vcc, exec, s[20:21]
                                        ; implicit-def: $vgpr18
                                        ; implicit-def: $vgpr54
	s_cbranch_vccz .LBB6_41
; %bb.32:                               ;   in Loop: Header=BB6_14 Depth=3
	s_and_b64 vcc, exec, s[28:29]
                                        ; implicit-def: $vgpr18
                                        ; implicit-def: $vgpr54
	s_cbranch_vccz .LBB6_38
; %bb.33:                               ;   in Loop: Header=BB6_14 Depth=3
	ds_read2_b64 v[2:5], v38 offset1:32
	ds_read_b64 v[32:33], v38 offset:512
	s_andn2_b64 vcc, exec, s[30:31]
	v_add_u32_e32 v53, 0x400, v38
	v_add_u32_e32 v52, 0xc00, v38
	;; [unrolled: 1-line block ×3, first 2 shown]
                                        ; implicit-def: $vgpr18
                                        ; implicit-def: $vgpr54
	s_cbranch_vccnz .LBB6_35
; %bb.34:                               ;   in Loop: Header=BB6_14 Depth=3
	ds_read_b128 v[18:21], v42
	ds_read_b128 v[14:17], v42 offset:16
	ds_read_b128 v[10:13], v42 offset:32
	;; [unrolled: 1-line block ×3, first 2 shown]
	ds_read_b64 v[34:35], v38 offset:7936
	s_waitcnt lgkmcnt(4)
	v_fma_f32 v54, v2, v18, v51
	v_fma_f32 v54, -v3, v19, v54
	v_fma_f32 v18, v3, v18, v50
	v_fmac_f32_e32 v54, v4, v20
	v_fmac_f32_e32 v18, v2, v19
	v_fma_f32 v19, -v5, v21, v54
	ds_read2_b64 v[54:57], v38 offset0:96 offset1:128
	v_fmac_f32_e32 v18, v5, v20
	v_fmac_f32_e32 v18, v4, v21
	s_waitcnt lgkmcnt(4)
	v_fmac_f32_e32 v19, v32, v14
	v_fmac_f32_e32 v18, v33, v14
	v_fma_f32 v19, -v33, v15, v19
	v_fmac_f32_e32 v18, v32, v15
	s_waitcnt lgkmcnt(0)
	v_fmac_f32_e32 v19, v54, v16
	v_fmac_f32_e32 v18, v55, v16
	v_fma_f32 v19, -v55, v17, v19
	v_fmac_f32_e32 v18, v54, v17
	ds_read2_b64 v[14:17], v38 offset0:160 offset1:192
	v_fmac_f32_e32 v19, v56, v10
	v_fmac_f32_e32 v18, v57, v10
	v_fma_f32 v19, -v57, v11, v19
	v_fmac_f32_e32 v18, v56, v11
	s_waitcnt lgkmcnt(0)
	v_fmac_f32_e32 v19, v14, v12
	v_fmac_f32_e32 v18, v15, v12
	v_fma_f32 v19, -v15, v13, v19
	v_fmac_f32_e32 v18, v14, v13
	ds_read2_b64 v[10:13], v53 offset0:96 offset1:128
	ds_read_b128 v[54:57], v42 offset:64
	v_fmac_f32_e32 v19, v16, v6
	v_fmac_f32_e32 v18, v17, v6
	v_fma_f32 v14, -v17, v7, v19
	v_fmac_f32_e32 v18, v16, v7
	s_waitcnt lgkmcnt(1)
	v_fmac_f32_e32 v14, v10, v8
	v_fmac_f32_e32 v18, v11, v8
	v_add_u32_e32 v19, 0x800, v38
	v_fma_f32 v14, -v11, v9, v14
	v_fmac_f32_e32 v18, v10, v9
	ds_read2_b64 v[6:9], v19 offset0:32 offset1:64
	s_waitcnt lgkmcnt(1)
	v_fmac_f32_e32 v14, v12, v54
	v_fma_f32 v10, -v13, v55, v14
	v_fmac_f32_e32 v18, v13, v54
	v_fmac_f32_e32 v18, v12, v55
	s_waitcnt lgkmcnt(0)
	v_fmac_f32_e32 v10, v6, v56
	v_fma_f32 v20, -v7, v57, v10
	ds_read_b128 v[10:13], v42 offset:80
	v_fmac_f32_e32 v18, v7, v56
	v_fmac_f32_e32 v18, v6, v57
	ds_read2_b64 v[14:17], v19 offset0:96 offset1:128
	ds_read_b128 v[54:57], v42 offset:96
	s_mov_b64 s[44:45], 0
	s_waitcnt lgkmcnt(2)
	v_fmac_f32_e32 v20, v8, v10
	v_fma_f32 v6, -v9, v11, v20
	v_fmac_f32_e32 v18, v9, v10
	s_waitcnt lgkmcnt(1)
	v_fmac_f32_e32 v6, v14, v12
	v_fmac_f32_e32 v18, v8, v11
	v_fma_f32 v10, -v15, v13, v6
	ds_read2_b64 v[6:9], v19 offset0:160 offset1:192
	s_waitcnt lgkmcnt(1)
	v_fmac_f32_e32 v10, v16, v54
	v_fmac_f32_e32 v18, v15, v12
	v_fma_f32 v10, -v17, v55, v10
	v_fmac_f32_e32 v18, v14, v13
	s_waitcnt lgkmcnt(0)
	v_fmac_f32_e32 v10, v6, v56
	v_fmac_f32_e32 v18, v17, v54
	v_fma_f32 v19, -v7, v57, v10
	ds_read_b128 v[10:13], v42 offset:112
	v_fmac_f32_e32 v18, v16, v55
	v_fmac_f32_e32 v18, v7, v56
	;; [unrolled: 1-line block ×3, first 2 shown]
	ds_read2_b64 v[14:17], v52 offset0:96 offset1:128
	ds_read_b128 v[54:57], v42 offset:128
	s_waitcnt lgkmcnt(2)
	v_fmac_f32_e32 v19, v8, v10
	v_fma_f32 v6, -v9, v11, v19
	v_fmac_f32_e32 v18, v9, v10
	s_waitcnt lgkmcnt(1)
	v_fmac_f32_e32 v6, v14, v12
	v_add_u32_e32 v19, 0x1000, v38
	v_fmac_f32_e32 v18, v8, v11
	v_fma_f32 v10, -v15, v13, v6
	ds_read2_b64 v[6:9], v19 offset0:32 offset1:64
	s_waitcnt lgkmcnt(1)
	v_fmac_f32_e32 v10, v16, v54
	v_fmac_f32_e32 v18, v15, v12
	v_fma_f32 v10, -v17, v55, v10
	v_fmac_f32_e32 v18, v14, v13
	s_waitcnt lgkmcnt(0)
	v_fmac_f32_e32 v10, v6, v56
	v_fmac_f32_e32 v18, v17, v54
	v_fma_f32 v20, -v7, v57, v10
	ds_read_b128 v[10:13], v42 offset:144
	v_fmac_f32_e32 v18, v16, v55
	v_fmac_f32_e32 v18, v7, v56
	;; [unrolled: 1-line block ×3, first 2 shown]
	ds_read2_b64 v[14:17], v19 offset0:96 offset1:128
	ds_read_b128 v[54:57], v42 offset:160
	s_waitcnt lgkmcnt(2)
	v_fmac_f32_e32 v20, v8, v10
	v_fma_f32 v6, -v9, v11, v20
	v_fmac_f32_e32 v18, v9, v10
	s_waitcnt lgkmcnt(1)
	v_fmac_f32_e32 v6, v14, v12
	v_fmac_f32_e32 v18, v8, v11
	v_fma_f32 v10, -v15, v13, v6
	ds_read2_b64 v[6:9], v19 offset0:160 offset1:192
	s_waitcnt lgkmcnt(1)
	v_fmac_f32_e32 v10, v16, v54
	v_fmac_f32_e32 v18, v15, v12
	v_fma_f32 v10, -v17, v55, v10
	v_fmac_f32_e32 v18, v14, v13
	s_waitcnt lgkmcnt(0)
	v_fmac_f32_e32 v10, v6, v56
	v_fmac_f32_e32 v18, v17, v54
	v_fma_f32 v19, -v7, v57, v10
	ds_read_b128 v[10:13], v42 offset:176
	v_fmac_f32_e32 v18, v16, v55
	v_fmac_f32_e32 v18, v7, v56
	;; [unrolled: 1-line block ×3, first 2 shown]
	ds_read2_b64 v[14:17], v30 offset0:96 offset1:128
	ds_read_b128 v[54:57], v42 offset:192
	s_waitcnt lgkmcnt(2)
	v_fmac_f32_e32 v19, v8, v10
	v_fma_f32 v6, -v9, v11, v19
	v_fmac_f32_e32 v18, v9, v10
	s_waitcnt lgkmcnt(1)
	v_fmac_f32_e32 v6, v14, v12
	v_add_u32_e32 v19, 0x1800, v38
	v_fmac_f32_e32 v18, v8, v11
	v_fma_f32 v10, -v15, v13, v6
	ds_read2_b64 v[6:9], v19 offset0:32 offset1:64
	s_waitcnt lgkmcnt(1)
	v_fmac_f32_e32 v10, v16, v54
	v_fmac_f32_e32 v18, v15, v12
	v_fma_f32 v10, -v17, v55, v10
	v_fmac_f32_e32 v18, v14, v13
	s_waitcnt lgkmcnt(0)
	v_fmac_f32_e32 v10, v6, v56
	v_fmac_f32_e32 v18, v17, v54
	v_fma_f32 v20, -v7, v57, v10
	ds_read_b128 v[10:13], v42 offset:208
	v_fmac_f32_e32 v18, v16, v55
	v_fmac_f32_e32 v18, v7, v56
	;; [unrolled: 1-line block ×3, first 2 shown]
	ds_read2_b64 v[14:17], v19 offset0:96 offset1:128
	ds_read_b128 v[54:57], v42 offset:224
	s_waitcnt lgkmcnt(2)
	v_fmac_f32_e32 v20, v8, v10
	v_fma_f32 v6, -v9, v11, v20
	v_fmac_f32_e32 v18, v9, v10
	s_waitcnt lgkmcnt(1)
	v_fmac_f32_e32 v6, v14, v12
	v_fmac_f32_e32 v18, v8, v11
	v_fma_f32 v10, -v15, v13, v6
	ds_read2_b64 v[6:9], v19 offset0:160 offset1:192
	v_fmac_f32_e32 v18, v15, v12
	s_waitcnt lgkmcnt(1)
	v_fmac_f32_e32 v10, v16, v54
	v_fmac_f32_e32 v18, v14, v13
	v_fma_f32 v14, -v17, v55, v10
	ds_read_b128 v[10:13], v42 offset:240
	v_fmac_f32_e32 v18, v17, v54
	v_fmac_f32_e32 v18, v16, v55
	s_waitcnt lgkmcnt(1)
	v_fmac_f32_e32 v14, v6, v56
	v_fmac_f32_e32 v18, v7, v56
	v_fma_f32 v14, -v7, v57, v14
	v_fmac_f32_e32 v18, v6, v57
	s_waitcnt lgkmcnt(0)
	v_fmac_f32_e32 v14, v8, v10
	v_fmac_f32_e32 v18, v9, v10
	v_fma_f32 v6, -v9, v11, v14
	v_fmac_f32_e32 v18, v8, v11
	v_fmac_f32_e32 v6, v34, v12
	;; [unrolled: 1-line block ×3, first 2 shown]
	v_fma_f32 v54, -v35, v13, v6
	v_fmac_f32_e32 v18, v34, v13
.LBB6_35:                               ;   in Loop: Header=BB6_14 Depth=3
	s_andn2_b64 vcc, exec, s[44:45]
	s_cbranch_vccnz .LBB6_37
; %bb.36:                               ;   in Loop: Header=BB6_14 Depth=3
	ds_read_b128 v[18:21], v42
	ds_read_b128 v[14:17], v42 offset:16
	ds_read_b128 v[10:13], v42 offset:32
	;; [unrolled: 1-line block ×3, first 2 shown]
	ds_read_b64 v[34:35], v38 offset:7936
	s_waitcnt lgkmcnt(4)
	v_fma_f32 v54, v2, v18, v51
	v_fmac_f32_e32 v54, v3, v19
	v_fma_f32 v3, -v3, v18, v50
	v_fmac_f32_e32 v3, v2, v19
	v_fmac_f32_e32 v54, v4, v20
	v_fma_f32 v18, -v5, v20, v3
	v_fmac_f32_e32 v54, v5, v21
	v_fmac_f32_e32 v18, v4, v21
	ds_read2_b64 v[2:5], v38 offset0:96 offset1:128
	s_waitcnt lgkmcnt(4)
	v_fmac_f32_e32 v54, v32, v14
	v_fmac_f32_e32 v54, v33, v15
	v_fma_f32 v14, -v33, v14, v18
	v_fmac_f32_e32 v14, v32, v15
	s_waitcnt lgkmcnt(0)
	v_fmac_f32_e32 v54, v2, v16
	v_fmac_f32_e32 v54, v3, v17
	v_fma_f32 v3, -v3, v16, v14
	v_fmac_f32_e32 v3, v2, v17
	ds_read2_b64 v[14:17], v38 offset0:160 offset1:192
	v_fmac_f32_e32 v54, v4, v10
	v_fmac_f32_e32 v54, v5, v11
	v_fma_f32 v2, -v5, v10, v3
	v_fmac_f32_e32 v2, v4, v11
	s_waitcnt lgkmcnt(0)
	v_fmac_f32_e32 v54, v14, v12
	v_fmac_f32_e32 v54, v15, v13
	v_fma_f32 v15, -v15, v12, v2
	v_fmac_f32_e32 v15, v14, v13
	ds_read2_b64 v[2:5], v53 offset0:96 offset1:128
	ds_read_b128 v[10:13], v42 offset:64
	v_fmac_f32_e32 v54, v16, v6
	v_fmac_f32_e32 v54, v17, v7
	v_fma_f32 v6, -v17, v6, v15
	v_fmac_f32_e32 v6, v16, v7
	s_waitcnt lgkmcnt(1)
	v_fmac_f32_e32 v54, v2, v8
	v_fmac_f32_e32 v54, v3, v9
	v_fma_f32 v3, -v3, v8, v6
	v_add_u32_e32 v18, 0x800, v38
	v_fmac_f32_e32 v3, v2, v9
	ds_read2_b64 v[6:9], v18 offset0:32 offset1:64
	s_waitcnt lgkmcnt(1)
	v_fmac_f32_e32 v54, v4, v10
	v_fma_f32 v10, -v5, v10, v3
	v_fmac_f32_e32 v54, v5, v11
	v_fmac_f32_e32 v10, v4, v11
	ds_read_b128 v[2:5], v42 offset:80
	s_waitcnt lgkmcnt(1)
	v_fmac_f32_e32 v54, v6, v12
	v_fmac_f32_e32 v54, v7, v13
	v_fma_f32 v7, -v7, v12, v10
	v_fmac_f32_e32 v7, v6, v13
	ds_read2_b64 v[10:13], v18 offset0:96 offset1:128
	ds_read_b128 v[14:17], v42 offset:96
	s_waitcnt lgkmcnt(2)
	v_fmac_f32_e32 v54, v8, v2
	v_fma_f32 v2, -v9, v2, v7
	v_fmac_f32_e32 v54, v9, v3
	v_fmac_f32_e32 v2, v8, v3
	s_waitcnt lgkmcnt(1)
	v_fmac_f32_e32 v54, v10, v4
	v_fma_f32 v6, -v11, v4, v2
	v_fmac_f32_e32 v54, v11, v5
	v_fmac_f32_e32 v6, v10, v5
	ds_read2_b64 v[2:5], v18 offset0:160 offset1:192
	s_waitcnt lgkmcnt(1)
	v_fmac_f32_e32 v54, v12, v14
	v_fmac_f32_e32 v54, v13, v15
	v_fma_f32 v10, -v13, v14, v6
	ds_read_b128 v[6:9], v42 offset:112
	v_fmac_f32_e32 v10, v12, v15
	s_waitcnt lgkmcnt(1)
	v_fmac_f32_e32 v54, v2, v16
	v_fmac_f32_e32 v54, v3, v17
	v_fma_f32 v3, -v3, v16, v10
	v_fmac_f32_e32 v3, v2, v17
	ds_read2_b64 v[10:13], v52 offset0:96 offset1:128
	ds_read_b128 v[14:17], v42 offset:128
	s_waitcnt lgkmcnt(2)
	v_fma_f32 v2, -v5, v6, v3
	v_fmac_f32_e32 v54, v4, v6
	v_fmac_f32_e32 v2, v4, v7
	v_add_u32_e32 v18, 0x1000, v38
	v_fmac_f32_e32 v54, v5, v7
	s_waitcnt lgkmcnt(1)
	v_fma_f32 v6, -v11, v8, v2
	ds_read2_b64 v[2:5], v18 offset0:32 offset1:64
	v_fmac_f32_e32 v54, v10, v8
	v_fmac_f32_e32 v54, v11, v9
	;; [unrolled: 1-line block ×3, first 2 shown]
	s_waitcnt lgkmcnt(1)
	v_fmac_f32_e32 v54, v12, v14
	v_fmac_f32_e32 v54, v13, v15
	v_fma_f32 v10, -v13, v14, v6
	ds_read_b128 v[6:9], v42 offset:144
	v_fmac_f32_e32 v10, v12, v15
	s_waitcnt lgkmcnt(1)
	v_fmac_f32_e32 v54, v2, v16
	v_fmac_f32_e32 v54, v3, v17
	v_fma_f32 v3, -v3, v16, v10
	v_fmac_f32_e32 v3, v2, v17
	ds_read2_b64 v[10:13], v18 offset0:96 offset1:128
	ds_read_b128 v[14:17], v42 offset:160
	s_waitcnt lgkmcnt(2)
	v_fma_f32 v2, -v5, v6, v3
	v_fmac_f32_e32 v54, v4, v6
	v_fmac_f32_e32 v2, v4, v7
	;; [unrolled: 1-line block ×3, first 2 shown]
	s_waitcnt lgkmcnt(1)
	v_fma_f32 v6, -v11, v8, v2
	ds_read2_b64 v[2:5], v18 offset0:160 offset1:192
	v_fmac_f32_e32 v54, v10, v8
	v_fmac_f32_e32 v54, v11, v9
	;; [unrolled: 1-line block ×3, first 2 shown]
	s_waitcnt lgkmcnt(1)
	v_fmac_f32_e32 v54, v12, v14
	v_fmac_f32_e32 v54, v13, v15
	v_fma_f32 v10, -v13, v14, v6
	ds_read_b128 v[6:9], v42 offset:176
	v_fmac_f32_e32 v10, v12, v15
	s_waitcnt lgkmcnt(1)
	v_fmac_f32_e32 v54, v2, v16
	v_fmac_f32_e32 v54, v3, v17
	v_fma_f32 v3, -v3, v16, v10
	v_fmac_f32_e32 v3, v2, v17
	ds_read2_b64 v[10:13], v30 offset0:96 offset1:128
	ds_read_b128 v[14:17], v42 offset:192
	s_waitcnt lgkmcnt(2)
	v_fma_f32 v2, -v5, v6, v3
	v_fmac_f32_e32 v54, v4, v6
	v_fmac_f32_e32 v2, v4, v7
	v_add_u32_e32 v18, 0x1800, v38
	v_fmac_f32_e32 v54, v5, v7
	s_waitcnt lgkmcnt(1)
	v_fma_f32 v6, -v11, v8, v2
	ds_read2_b64 v[2:5], v18 offset0:32 offset1:64
	v_fmac_f32_e32 v54, v10, v8
	v_fmac_f32_e32 v54, v11, v9
	;; [unrolled: 1-line block ×3, first 2 shown]
	s_waitcnt lgkmcnt(1)
	v_fmac_f32_e32 v54, v12, v14
	v_fmac_f32_e32 v54, v13, v15
	v_fma_f32 v10, -v13, v14, v6
	ds_read_b128 v[6:9], v42 offset:208
	v_fmac_f32_e32 v10, v12, v15
	s_waitcnt lgkmcnt(1)
	v_fmac_f32_e32 v54, v2, v16
	v_fmac_f32_e32 v54, v3, v17
	v_fma_f32 v3, -v3, v16, v10
	v_fmac_f32_e32 v3, v2, v17
	ds_read2_b64 v[10:13], v18 offset0:96 offset1:128
	ds_read_b128 v[14:17], v42 offset:224
	s_waitcnt lgkmcnt(2)
	v_fma_f32 v2, -v5, v6, v3
	v_fmac_f32_e32 v54, v4, v6
	v_fmac_f32_e32 v2, v4, v7
	;; [unrolled: 1-line block ×3, first 2 shown]
	s_waitcnt lgkmcnt(1)
	v_fma_f32 v6, -v11, v8, v2
	ds_read2_b64 v[2:5], v18 offset0:160 offset1:192
	v_fmac_f32_e32 v54, v10, v8
	v_fmac_f32_e32 v54, v11, v9
	;; [unrolled: 1-line block ×3, first 2 shown]
	s_waitcnt lgkmcnt(1)
	v_fmac_f32_e32 v54, v12, v14
	v_fma_f32 v10, -v13, v14, v6
	ds_read_b128 v[6:9], v42 offset:240
	v_fmac_f32_e32 v54, v13, v15
	v_fmac_f32_e32 v10, v12, v15
	s_waitcnt lgkmcnt(1)
	v_fmac_f32_e32 v54, v2, v16
	v_fmac_f32_e32 v54, v3, v17
	v_fma_f32 v3, -v3, v16, v10
	v_fmac_f32_e32 v3, v2, v17
	s_waitcnt lgkmcnt(0)
	v_fmac_f32_e32 v54, v4, v6
	v_fma_f32 v2, -v5, v6, v3
	v_fmac_f32_e32 v54, v5, v7
	v_fmac_f32_e32 v2, v4, v7
	;; [unrolled: 1-line block ×3, first 2 shown]
	v_fma_f32 v18, -v35, v8, v2
	v_fmac_f32_e32 v54, v35, v9
	v_fmac_f32_e32 v18, v34, v9
.LBB6_37:                               ;   in Loop: Header=BB6_14 Depth=3
	s_mov_b64 s[44:45], 0
.LBB6_38:                               ;   in Loop: Header=BB6_14 Depth=3
	s_andn2_b64 vcc, exec, s[44:45]
	s_cbranch_vccnz .LBB6_40
; %bb.39:                               ;   in Loop: Header=BB6_14 Depth=3
	s_waitcnt lgkmcnt(1)
	ds_read2_b64 v[2:5], v38 offset1:32
	ds_read_b128 v[6:9], v42
	ds_read_b128 v[10:13], v42 offset:16
	ds_read_b128 v[14:17], v42 offset:32
	;; [unrolled: 1-line block ×3, first 2 shown]
	s_waitcnt lgkmcnt(5)
	ds_read2_b64 v[32:35], v38 offset0:64 offset1:96
	s_waitcnt lgkmcnt(4)
	v_fma_f32 v54, v2, v6, v51
	v_fmac_f32_e32 v54, v3, v7
	v_fma_f32 v3, v3, v6, v50
	v_fma_f32 v2, v2, -v7, v3
	v_fmac_f32_e32 v2, v5, v8
	v_fma_f32 v2, v4, -v9, v2
	v_fmac_f32_e32 v54, v4, v8
	s_waitcnt lgkmcnt(0)
	v_fmac_f32_e32 v2, v33, v10
	v_fmac_f32_e32 v54, v5, v9
	v_fma_f32 v6, v32, -v11, v2
	ds_read2_b64 v[2:5], v38 offset0:128 offset1:160
	v_fmac_f32_e32 v54, v32, v10
	v_fmac_f32_e32 v54, v33, v11
	;; [unrolled: 1-line block ×4, first 2 shown]
	v_fma_f32 v6, v34, -v13, v6
	v_fmac_f32_e32 v54, v35, v13
	s_waitcnt lgkmcnt(0)
	v_fmac_f32_e32 v6, v3, v14
	v_fmac_f32_e32 v54, v2, v14
	v_fma_f32 v2, v2, -v15, v6
	ds_read2_b64 v[6:9], v38 offset0:192 offset1:224
	v_fmac_f32_e32 v54, v3, v15
	v_fmac_f32_e32 v54, v4, v16
	;; [unrolled: 1-line block ×4, first 2 shown]
	v_fma_f32 v2, v4, -v17, v2
	s_waitcnt lgkmcnt(0)
	v_fmac_f32_e32 v54, v6, v18
	v_fmac_f32_e32 v2, v7, v18
	v_add_u32_e32 v18, 0x800, v38
	v_fma_f32 v6, v6, -v19, v2
	ds_read2_b64 v[2:5], v18 offset1:32
	ds_read_b128 v[10:13], v42 offset:64
	v_fmac_f32_e32 v54, v7, v19
	v_fmac_f32_e32 v6, v9, v20
	;; [unrolled: 1-line block ×3, first 2 shown]
	v_fma_f32 v14, v8, -v21, v6
	v_fmac_f32_e32 v54, v9, v21
	s_waitcnt lgkmcnt(0)
	v_fmac_f32_e32 v14, v3, v10
	ds_read_b128 v[6:9], v42 offset:80
	v_fmac_f32_e32 v54, v2, v10
	v_fma_f32 v2, v2, -v11, v14
	ds_read2_b64 v[14:17], v18 offset0:64 offset1:96
	v_fmac_f32_e32 v54, v3, v11
	v_fmac_f32_e32 v2, v5, v12
	;; [unrolled: 1-line block ×3, first 2 shown]
	v_fma_f32 v2, v4, -v13, v2
	v_fmac_f32_e32 v54, v5, v13
	s_waitcnt lgkmcnt(0)
	v_fmac_f32_e32 v2, v15, v6
	v_fmac_f32_e32 v54, v14, v6
	v_fma_f32 v6, v14, -v7, v2
	ds_read2_b64 v[2:5], v18 offset0:128 offset1:160
	ds_read_b128 v[10:13], v42 offset:96
	v_fmac_f32_e32 v54, v15, v7
	v_fmac_f32_e32 v6, v17, v8
	;; [unrolled: 1-line block ×3, first 2 shown]
	v_fma_f32 v14, v16, -v9, v6
	v_fmac_f32_e32 v54, v17, v9
	s_waitcnt lgkmcnt(0)
	v_fmac_f32_e32 v14, v3, v10
	ds_read_b128 v[6:9], v42 offset:112
	v_fmac_f32_e32 v54, v2, v10
	v_fma_f32 v2, v2, -v11, v14
	ds_read2_b64 v[14:17], v18 offset0:192 offset1:224
	v_fmac_f32_e32 v54, v3, v11
	v_fmac_f32_e32 v2, v5, v12
	;; [unrolled: 1-line block ×3, first 2 shown]
	v_fma_f32 v2, v4, -v13, v2
	v_fmac_f32_e32 v54, v5, v13
	s_waitcnt lgkmcnt(0)
	v_fmac_f32_e32 v2, v15, v6
	v_add_u32_e32 v18, 0x1000, v38
	v_fmac_f32_e32 v54, v14, v6
	v_fma_f32 v6, v14, -v7, v2
	ds_read2_b64 v[2:5], v18 offset1:32
	ds_read_b128 v[10:13], v42 offset:128
	v_fmac_f32_e32 v54, v15, v7
	v_fmac_f32_e32 v6, v17, v8
	;; [unrolled: 1-line block ×3, first 2 shown]
	v_fma_f32 v14, v16, -v9, v6
	v_fmac_f32_e32 v54, v17, v9
	s_waitcnt lgkmcnt(0)
	v_fmac_f32_e32 v14, v3, v10
	ds_read_b128 v[6:9], v42 offset:144
	v_fmac_f32_e32 v54, v2, v10
	v_fma_f32 v2, v2, -v11, v14
	ds_read2_b64 v[14:17], v18 offset0:64 offset1:96
	v_fmac_f32_e32 v54, v3, v11
	v_fmac_f32_e32 v2, v5, v12
	;; [unrolled: 1-line block ×3, first 2 shown]
	v_fma_f32 v2, v4, -v13, v2
	v_fmac_f32_e32 v54, v5, v13
	s_waitcnt lgkmcnt(0)
	v_fmac_f32_e32 v2, v15, v6
	v_fmac_f32_e32 v54, v14, v6
	v_fma_f32 v6, v14, -v7, v2
	ds_read2_b64 v[2:5], v18 offset0:128 offset1:160
	ds_read_b128 v[10:13], v42 offset:160
	v_fmac_f32_e32 v54, v15, v7
	v_fmac_f32_e32 v6, v17, v8
	;; [unrolled: 1-line block ×3, first 2 shown]
	v_fma_f32 v14, v16, -v9, v6
	v_fmac_f32_e32 v54, v17, v9
	s_waitcnt lgkmcnt(0)
	v_fmac_f32_e32 v14, v3, v10
	ds_read_b128 v[6:9], v42 offset:176
	v_fmac_f32_e32 v54, v2, v10
	v_fma_f32 v2, v2, -v11, v14
	ds_read2_b64 v[14:17], v18 offset0:192 offset1:224
	v_fmac_f32_e32 v54, v3, v11
	v_fmac_f32_e32 v2, v5, v12
	;; [unrolled: 1-line block ×3, first 2 shown]
	v_fma_f32 v2, v4, -v13, v2
	v_fmac_f32_e32 v54, v5, v13
	s_waitcnt lgkmcnt(0)
	v_fmac_f32_e32 v2, v15, v6
	v_add_u32_e32 v18, 0x1800, v38
	v_fmac_f32_e32 v54, v14, v6
	v_fma_f32 v6, v14, -v7, v2
	ds_read2_b64 v[2:5], v18 offset1:32
	ds_read_b128 v[10:13], v42 offset:192
	v_fmac_f32_e32 v54, v15, v7
	v_fmac_f32_e32 v6, v17, v8
	;; [unrolled: 1-line block ×3, first 2 shown]
	v_fma_f32 v14, v16, -v9, v6
	v_fmac_f32_e32 v54, v17, v9
	s_waitcnt lgkmcnt(0)
	v_fmac_f32_e32 v14, v3, v10
	ds_read_b128 v[6:9], v42 offset:208
	v_fmac_f32_e32 v54, v2, v10
	v_fma_f32 v2, v2, -v11, v14
	ds_read2_b64 v[14:17], v18 offset0:64 offset1:96
	v_fmac_f32_e32 v54, v3, v11
	v_fmac_f32_e32 v2, v5, v12
	v_fmac_f32_e32 v54, v4, v12
	v_fma_f32 v2, v4, -v13, v2
	v_fmac_f32_e32 v54, v5, v13
	s_waitcnt lgkmcnt(0)
	v_fmac_f32_e32 v2, v15, v6
	v_fmac_f32_e32 v54, v14, v6
	v_fma_f32 v6, v14, -v7, v2
	ds_read2_b64 v[2:5], v18 offset0:128 offset1:160
	ds_read_b128 v[10:13], v42 offset:224
	v_fmac_f32_e32 v54, v15, v7
	v_fmac_f32_e32 v6, v17, v8
	;; [unrolled: 1-line block ×3, first 2 shown]
	v_fma_f32 v14, v16, -v9, v6
	v_fmac_f32_e32 v54, v17, v9
	s_waitcnt lgkmcnt(0)
	v_fmac_f32_e32 v14, v3, v10
	ds_read_b128 v[6:9], v42 offset:240
	v_fmac_f32_e32 v54, v2, v10
	v_fma_f32 v2, v2, -v11, v14
	ds_read2_b64 v[14:17], v18 offset0:192 offset1:224
	v_fmac_f32_e32 v54, v3, v11
	v_fmac_f32_e32 v54, v4, v12
	;; [unrolled: 1-line block ×4, first 2 shown]
	v_fma_f32 v2, v4, -v13, v2
	s_waitcnt lgkmcnt(0)
	v_fmac_f32_e32 v54, v14, v6
	v_fmac_f32_e32 v2, v15, v6
	;; [unrolled: 1-line block ×3, first 2 shown]
	v_fma_f32 v2, v14, -v7, v2
	v_fmac_f32_e32 v54, v16, v8
	v_fmac_f32_e32 v2, v17, v8
	;; [unrolled: 1-line block ×3, first 2 shown]
	v_fma_f32 v18, v16, -v9, v2
.LBB6_40:                               ;   in Loop: Header=BB6_14 Depth=3
	s_mov_b64 s[44:45], 0
.LBB6_41:                               ;   in Loop: Header=BB6_14 Depth=3
	s_andn2_b64 vcc, exec, s[44:45]
	s_cbranch_vccnz .LBB6_12
; %bb.42:                               ;   in Loop: Header=BB6_14 Depth=3
	s_waitcnt lgkmcnt(1)
	ds_read2_b64 v[2:5], v38 offset1:32
	ds_read_b128 v[6:9], v42
	ds_read_b128 v[10:13], v42 offset:16
	ds_read_b128 v[14:17], v42 offset:32
	ds_read_b128 v[18:21], v42 offset:48
	s_waitcnt lgkmcnt(5)
	ds_read2_b64 v[32:35], v38 offset0:64 offset1:96
	s_waitcnt lgkmcnt(4)
	v_fmac_f32_e32 v51, v2, v6
	v_fma_f32 v30, v3, -v7, v51
	v_fma_f32 v3, -v3, v6, v50
	v_fma_f32 v2, v2, -v7, v3
	v_fmac_f32_e32 v30, v4, v8
	v_fma_f32 v2, -v5, v8, v2
	v_fma_f32 v3, v5, -v9, v30
	v_fma_f32 v2, v4, -v9, v2
	s_waitcnt lgkmcnt(0)
	v_fmac_f32_e32 v3, v32, v10
	v_fma_f32 v2, -v33, v10, v2
	v_fma_f32 v6, v33, -v11, v3
	v_fma_f32 v7, v32, -v11, v2
	ds_read2_b64 v[2:5], v38 offset0:128 offset1:160
	v_fmac_f32_e32 v6, v34, v12
	v_fma_f32 v6, v35, -v13, v6
	v_fma_f32 v7, -v35, v12, v7
	v_fma_f32 v7, v34, -v13, v7
	s_waitcnt lgkmcnt(0)
	v_fmac_f32_e32 v6, v2, v14
	v_fma_f32 v10, v3, -v15, v6
	v_fma_f32 v3, -v3, v14, v7
	ds_read2_b64 v[6:9], v38 offset0:192 offset1:224
	v_fma_f32 v2, v2, -v15, v3
	v_fmac_f32_e32 v10, v4, v16
	v_fma_f32 v2, -v5, v16, v2
	v_fma_f32 v3, v5, -v17, v10
	v_fma_f32 v2, v4, -v17, v2
	s_waitcnt lgkmcnt(0)
	v_fmac_f32_e32 v3, v6, v18
	v_fma_f32 v2, -v7, v18, v2
	v_add_u32_e32 v18, 0x800, v38
	v_fma_f32 v14, v7, -v19, v3
	v_fma_f32 v6, v6, -v19, v2
	ds_read2_b64 v[2:5], v18 offset1:32
	ds_read_b128 v[10:13], v42 offset:64
	v_fmac_f32_e32 v14, v8, v20
	v_fma_f32 v14, v9, -v21, v14
	v_fma_f32 v6, -v9, v20, v6
	v_fma_f32 v15, v8, -v21, v6
	s_waitcnt lgkmcnt(0)
	v_fmac_f32_e32 v14, v2, v10
	ds_read_b128 v[6:9], v42 offset:80
	v_fma_f32 v19, v3, -v11, v14
	v_fma_f32 v3, -v3, v10, v15
	ds_read2_b64 v[14:17], v18 offset0:64 offset1:96
	v_fma_f32 v2, v2, -v11, v3
	v_fmac_f32_e32 v19, v4, v12
	v_fma_f32 v2, -v5, v12, v2
	v_fma_f32 v3, v5, -v13, v19
	v_fma_f32 v2, v4, -v13, v2
	s_waitcnt lgkmcnt(0)
	v_fmac_f32_e32 v3, v14, v6
	v_fma_f32 v2, -v15, v6, v2
	v_fma_f32 v19, v15, -v7, v3
	v_fma_f32 v6, v14, -v7, v2
	ds_read2_b64 v[2:5], v18 offset0:128 offset1:160
	ds_read_b128 v[10:13], v42 offset:96
	v_fmac_f32_e32 v19, v16, v8
	v_fma_f32 v14, v17, -v9, v19
	v_fma_f32 v6, -v17, v8, v6
	v_fma_f32 v15, v16, -v9, v6
	s_waitcnt lgkmcnt(0)
	v_fmac_f32_e32 v14, v2, v10
	ds_read_b128 v[6:9], v42 offset:112
	v_fma_f32 v19, v3, -v11, v14
	v_fma_f32 v3, -v3, v10, v15
	ds_read2_b64 v[14:17], v18 offset0:192 offset1:224
	v_fma_f32 v2, v2, -v11, v3
	v_fmac_f32_e32 v19, v4, v12
	v_fma_f32 v2, -v5, v12, v2
	v_fma_f32 v3, v5, -v13, v19
	v_fma_f32 v2, v4, -v13, v2
	s_waitcnt lgkmcnt(0)
	v_fmac_f32_e32 v3, v14, v6
	v_fma_f32 v2, -v15, v6, v2
	v_add_u32_e32 v19, 0x1000, v38
	v_fma_f32 v18, v15, -v7, v3
	v_fma_f32 v6, v14, -v7, v2
	ds_read2_b64 v[2:5], v19 offset1:32
	ds_read_b128 v[10:13], v42 offset:128
	v_fmac_f32_e32 v18, v16, v8
	v_fma_f32 v14, v17, -v9, v18
	v_fma_f32 v6, -v17, v8, v6
	v_fma_f32 v15, v16, -v9, v6
	s_waitcnt lgkmcnt(0)
	v_fmac_f32_e32 v14, v2, v10
	ds_read_b128 v[6:9], v42 offset:144
	v_fma_f32 v18, v3, -v11, v14
	v_fma_f32 v3, -v3, v10, v15
	ds_read2_b64 v[14:17], v19 offset0:64 offset1:96
	v_fma_f32 v2, v2, -v11, v3
	v_fmac_f32_e32 v18, v4, v12
	v_fma_f32 v2, -v5, v12, v2
	v_fma_f32 v3, v5, -v13, v18
	v_fma_f32 v2, v4, -v13, v2
	s_waitcnt lgkmcnt(0)
	v_fmac_f32_e32 v3, v14, v6
	v_fma_f32 v2, -v15, v6, v2
	v_fma_f32 v18, v15, -v7, v3
	v_fma_f32 v6, v14, -v7, v2
	ds_read2_b64 v[2:5], v19 offset0:128 offset1:160
	ds_read_b128 v[10:13], v42 offset:160
	v_fmac_f32_e32 v18, v16, v8
	v_fma_f32 v14, v17, -v9, v18
	v_fma_f32 v6, -v17, v8, v6
	v_fma_f32 v15, v16, -v9, v6
	s_waitcnt lgkmcnt(0)
	v_fmac_f32_e32 v14, v2, v10
	ds_read_b128 v[6:9], v42 offset:176
	;; [unrolled: 45-line block ×3, first 2 shown]
	v_fma_f32 v18, v3, -v11, v14
	v_fma_f32 v3, -v3, v10, v15
	ds_read2_b64 v[14:17], v19 offset0:192 offset1:224
	v_fma_f32 v2, v2, -v11, v3
	v_fmac_f32_e32 v18, v4, v12
	v_fma_f32 v2, -v5, v12, v2
	v_fma_f32 v3, v5, -v13, v18
	v_fma_f32 v2, v4, -v13, v2
	s_waitcnt lgkmcnt(0)
	v_fmac_f32_e32 v3, v14, v6
	v_fma_f32 v2, -v15, v6, v2
	v_fma_f32 v3, v15, -v7, v3
	v_fma_f32 v2, v14, -v7, v2
	v_fmac_f32_e32 v3, v16, v8
	v_fma_f32 v2, -v17, v8, v2
	v_fma_f32 v54, v17, -v9, v3
	v_fma_f32 v18, v16, -v9, v2
	s_branch .LBB6_12
.LBB6_43:                               ;   in Loop: Header=BB6_14 Depth=3
	s_mov_b64 s[44:45], 0
                                        ; implicit-def: $vgpr2
	s_cbranch_execz .LBB6_28
.LBB6_44:                               ;   in Loop: Header=BB6_14 Depth=3
                                        ; implicit-def: $vgpr2
	s_and_saveexec_b64 s[48:49], s[46:47]
; %bb.45:                               ;   in Loop: Header=BB6_14 Depth=3
	v_add_u32_e32 v2, v3, v47
	s_or_b64 s[44:45], s[44:45], exec
; %bb.46:                               ;   in Loop: Header=BB6_14 Depth=3
	s_or_b64 exec, exec, s[48:49]
	v_mov_b32_e32 v3, 0
	v_mov_b32_e32 v4, 0
	s_and_saveexec_b64 s[46:47], s[44:45]
	s_cbranch_execnz .LBB6_29
	s_branch .LBB6_30
.LBB6_47:                               ;   in Loop: Header=BB6_8 Depth=1
	v_add_u32_e32 v4, s7, v45
	v_ashrrev_i32_e32 v5, 31, v4
	s_mov_b64 s[4:5], -1
	s_and_b64 vcc, exec, s[34:35]
                                        ; implicit-def: $vgpr2_vgpr3
	s_cbranch_vccnz .LBB6_50
; %bb.48:                               ;   in Loop: Header=BB6_8 Depth=1
	s_andn2_b64 vcc, exec, s[4:5]
	s_cbranch_vccz .LBB6_51
.LBB6_49:                               ;   in Loop: Header=BB6_8 Depth=1
	v_cmp_gt_i32_e32 vcc, s19, v45
	s_and_b64 s[42:43], s[36:37], vcc
	s_and_saveexec_b64 s[4:5], s[42:43]
	s_cbranch_execz .LBB6_7
	s_branch .LBB6_52
.LBB6_50:                               ;   in Loop: Header=BB6_8 Depth=1
	v_mad_u64_u32 v[2:3], s[4:5], s26, v4, v[26:27]
	v_mul_lo_u32 v6, s26, v5
	v_mul_lo_u32 v7, s27, v4
	v_add3_u32 v3, v7, v3, v6
	s_cbranch_execnz .LBB6_49
.LBB6_51:                               ;   in Loop: Header=BB6_8 Depth=1
	v_add_co_u32_e32 v2, vcc, v28, v4
	v_addc_co_u32_e32 v3, vcc, v29, v5, vcc
	v_cmp_gt_i32_e32 vcc, s19, v45
	s_and_b64 s[42:43], s[36:37], vcc
	s_and_saveexec_b64 s[4:5], s[42:43]
	s_cbranch_execz .LBB6_7
.LBB6_52:                               ;   in Loop: Header=BB6_8 Depth=1
	v_lshlrev_b64 v[4:5], 3, v[2:3]
	v_mul_f32_e64 v2, v50, -v23
	v_mul_f32_e32 v3, v22, v50
	v_fmac_f32_e32 v2, v22, v51
	v_fmac_f32_e32 v3, v23, v51
	s_and_saveexec_b64 s[42:43], s[38:39]
	s_xor_b64 s[42:43], exec, s[42:43]
	s_cbranch_execz .LBB6_54
; %bb.53:                               ;   in Loop: Header=BB6_8 Depth=1
	v_mov_b32_e32 v6, s25
	v_add_co_u32_e32 v4, vcc, s24, v4
	v_addc_co_u32_e32 v5, vcc, v6, v5, vcc
	global_load_dwordx2 v[6:7], v[4:5], off
	s_waitcnt vmcnt(0)
	v_fmac_f32_e32 v2, v24, v6
	v_fmac_f32_e32 v3, v25, v6
	v_fma_f32 v2, -v25, v7, v2
	v_fmac_f32_e32 v3, v24, v7
	global_store_dwordx2 v[4:5], v[2:3], off
                                        ; implicit-def: $vgpr4_vgpr5
                                        ; implicit-def: $vgpr2
.LBB6_54:                               ;   in Loop: Header=BB6_8 Depth=1
	s_andn2_saveexec_b64 s[42:43], s[42:43]
	s_cbranch_execz .LBB6_7
; %bb.55:                               ;   in Loop: Header=BB6_8 Depth=1
	v_mov_b32_e32 v6, s25
	v_add_co_u32_e32 v4, vcc, s24, v4
	v_addc_co_u32_e32 v5, vcc, v6, v5, vcc
	global_store_dwordx2 v[4:5], v[2:3], off
	s_branch .LBB6_7
.LBB6_56:
	s_endpgm
	.section	.rodata,"a",@progbits
	.p2align	6, 0x0
	.amdhsa_kernel _ZN9rocsparseL30bellmm_general_blockdim_kernelILi32ELi32E21rocsparse_complex_numIfEiS2_S2_S2_EEv20rocsparse_operation_S3_20rocsparse_direction_T2_S5_NS_24const_host_device_scalarIT1_EES5_S5_PKS5_PKT3_PKT4_l16rocsparse_order_S8_PT5_lSH_21rocsparse_index_base_b
		.amdhsa_group_segment_fixed_size 16384
		.amdhsa_private_segment_fixed_size 0
		.amdhsa_kernarg_size 116
		.amdhsa_user_sgpr_count 6
		.amdhsa_user_sgpr_private_segment_buffer 1
		.amdhsa_user_sgpr_dispatch_ptr 0
		.amdhsa_user_sgpr_queue_ptr 0
		.amdhsa_user_sgpr_kernarg_segment_ptr 1
		.amdhsa_user_sgpr_dispatch_id 0
		.amdhsa_user_sgpr_flat_scratch_init 0
		.amdhsa_user_sgpr_private_segment_size 0
		.amdhsa_uses_dynamic_stack 0
		.amdhsa_system_sgpr_private_segment_wavefront_offset 0
		.amdhsa_system_sgpr_workgroup_id_x 1
		.amdhsa_system_sgpr_workgroup_id_y 1
		.amdhsa_system_sgpr_workgroup_id_z 0
		.amdhsa_system_sgpr_workgroup_info 0
		.amdhsa_system_vgpr_workitem_id 1
		.amdhsa_next_free_vgpr 58
		.amdhsa_next_free_sgpr 61
		.amdhsa_reserve_vcc 1
		.amdhsa_reserve_flat_scratch 0
		.amdhsa_float_round_mode_32 0
		.amdhsa_float_round_mode_16_64 0
		.amdhsa_float_denorm_mode_32 3
		.amdhsa_float_denorm_mode_16_64 3
		.amdhsa_dx10_clamp 1
		.amdhsa_ieee_mode 1
		.amdhsa_fp16_overflow 0
		.amdhsa_exception_fp_ieee_invalid_op 0
		.amdhsa_exception_fp_denorm_src 0
		.amdhsa_exception_fp_ieee_div_zero 0
		.amdhsa_exception_fp_ieee_overflow 0
		.amdhsa_exception_fp_ieee_underflow 0
		.amdhsa_exception_fp_ieee_inexact 0
		.amdhsa_exception_int_div_zero 0
	.end_amdhsa_kernel
	.section	.text._ZN9rocsparseL30bellmm_general_blockdim_kernelILi32ELi32E21rocsparse_complex_numIfEiS2_S2_S2_EEv20rocsparse_operation_S3_20rocsparse_direction_T2_S5_NS_24const_host_device_scalarIT1_EES5_S5_PKS5_PKT3_PKT4_l16rocsparse_order_S8_PT5_lSH_21rocsparse_index_base_b,"axG",@progbits,_ZN9rocsparseL30bellmm_general_blockdim_kernelILi32ELi32E21rocsparse_complex_numIfEiS2_S2_S2_EEv20rocsparse_operation_S3_20rocsparse_direction_T2_S5_NS_24const_host_device_scalarIT1_EES5_S5_PKS5_PKT3_PKT4_l16rocsparse_order_S8_PT5_lSH_21rocsparse_index_base_b,comdat
.Lfunc_end6:
	.size	_ZN9rocsparseL30bellmm_general_blockdim_kernelILi32ELi32E21rocsparse_complex_numIfEiS2_S2_S2_EEv20rocsparse_operation_S3_20rocsparse_direction_T2_S5_NS_24const_host_device_scalarIT1_EES5_S5_PKS5_PKT3_PKT4_l16rocsparse_order_S8_PT5_lSH_21rocsparse_index_base_b, .Lfunc_end6-_ZN9rocsparseL30bellmm_general_blockdim_kernelILi32ELi32E21rocsparse_complex_numIfEiS2_S2_S2_EEv20rocsparse_operation_S3_20rocsparse_direction_T2_S5_NS_24const_host_device_scalarIT1_EES5_S5_PKS5_PKT3_PKT4_l16rocsparse_order_S8_PT5_lSH_21rocsparse_index_base_b
                                        ; -- End function
	.set _ZN9rocsparseL30bellmm_general_blockdim_kernelILi32ELi32E21rocsparse_complex_numIfEiS2_S2_S2_EEv20rocsparse_operation_S3_20rocsparse_direction_T2_S5_NS_24const_host_device_scalarIT1_EES5_S5_PKS5_PKT3_PKT4_l16rocsparse_order_S8_PT5_lSH_21rocsparse_index_base_b.num_vgpr, 58
	.set _ZN9rocsparseL30bellmm_general_blockdim_kernelILi32ELi32E21rocsparse_complex_numIfEiS2_S2_S2_EEv20rocsparse_operation_S3_20rocsparse_direction_T2_S5_NS_24const_host_device_scalarIT1_EES5_S5_PKS5_PKT3_PKT4_l16rocsparse_order_S8_PT5_lSH_21rocsparse_index_base_b.num_agpr, 0
	.set _ZN9rocsparseL30bellmm_general_blockdim_kernelILi32ELi32E21rocsparse_complex_numIfEiS2_S2_S2_EEv20rocsparse_operation_S3_20rocsparse_direction_T2_S5_NS_24const_host_device_scalarIT1_EES5_S5_PKS5_PKT3_PKT4_l16rocsparse_order_S8_PT5_lSH_21rocsparse_index_base_b.numbered_sgpr, 58
	.set _ZN9rocsparseL30bellmm_general_blockdim_kernelILi32ELi32E21rocsparse_complex_numIfEiS2_S2_S2_EEv20rocsparse_operation_S3_20rocsparse_direction_T2_S5_NS_24const_host_device_scalarIT1_EES5_S5_PKS5_PKT3_PKT4_l16rocsparse_order_S8_PT5_lSH_21rocsparse_index_base_b.num_named_barrier, 0
	.set _ZN9rocsparseL30bellmm_general_blockdim_kernelILi32ELi32E21rocsparse_complex_numIfEiS2_S2_S2_EEv20rocsparse_operation_S3_20rocsparse_direction_T2_S5_NS_24const_host_device_scalarIT1_EES5_S5_PKS5_PKT3_PKT4_l16rocsparse_order_S8_PT5_lSH_21rocsparse_index_base_b.private_seg_size, 0
	.set _ZN9rocsparseL30bellmm_general_blockdim_kernelILi32ELi32E21rocsparse_complex_numIfEiS2_S2_S2_EEv20rocsparse_operation_S3_20rocsparse_direction_T2_S5_NS_24const_host_device_scalarIT1_EES5_S5_PKS5_PKT3_PKT4_l16rocsparse_order_S8_PT5_lSH_21rocsparse_index_base_b.uses_vcc, 1
	.set _ZN9rocsparseL30bellmm_general_blockdim_kernelILi32ELi32E21rocsparse_complex_numIfEiS2_S2_S2_EEv20rocsparse_operation_S3_20rocsparse_direction_T2_S5_NS_24const_host_device_scalarIT1_EES5_S5_PKS5_PKT3_PKT4_l16rocsparse_order_S8_PT5_lSH_21rocsparse_index_base_b.uses_flat_scratch, 0
	.set _ZN9rocsparseL30bellmm_general_blockdim_kernelILi32ELi32E21rocsparse_complex_numIfEiS2_S2_S2_EEv20rocsparse_operation_S3_20rocsparse_direction_T2_S5_NS_24const_host_device_scalarIT1_EES5_S5_PKS5_PKT3_PKT4_l16rocsparse_order_S8_PT5_lSH_21rocsparse_index_base_b.has_dyn_sized_stack, 0
	.set _ZN9rocsparseL30bellmm_general_blockdim_kernelILi32ELi32E21rocsparse_complex_numIfEiS2_S2_S2_EEv20rocsparse_operation_S3_20rocsparse_direction_T2_S5_NS_24const_host_device_scalarIT1_EES5_S5_PKS5_PKT3_PKT4_l16rocsparse_order_S8_PT5_lSH_21rocsparse_index_base_b.has_recursion, 0
	.set _ZN9rocsparseL30bellmm_general_blockdim_kernelILi32ELi32E21rocsparse_complex_numIfEiS2_S2_S2_EEv20rocsparse_operation_S3_20rocsparse_direction_T2_S5_NS_24const_host_device_scalarIT1_EES5_S5_PKS5_PKT3_PKT4_l16rocsparse_order_S8_PT5_lSH_21rocsparse_index_base_b.has_indirect_call, 0
	.section	.AMDGPU.csdata,"",@progbits
; Kernel info:
; codeLenInByte = 5896
; TotalNumSgprs: 62
; NumVgprs: 58
; ScratchSize: 0
; MemoryBound: 0
; FloatMode: 240
; IeeeMode: 1
; LDSByteSize: 16384 bytes/workgroup (compile time only)
; SGPRBlocks: 8
; VGPRBlocks: 14
; NumSGPRsForWavesPerEU: 65
; NumVGPRsForWavesPerEU: 58
; Occupancy: 4
; WaveLimiterHint : 0
; COMPUTE_PGM_RSRC2:SCRATCH_EN: 0
; COMPUTE_PGM_RSRC2:USER_SGPR: 6
; COMPUTE_PGM_RSRC2:TRAP_HANDLER: 0
; COMPUTE_PGM_RSRC2:TGID_X_EN: 1
; COMPUTE_PGM_RSRC2:TGID_Y_EN: 1
; COMPUTE_PGM_RSRC2:TGID_Z_EN: 0
; COMPUTE_PGM_RSRC2:TIDIG_COMP_CNT: 1
	.section	.text._ZN9rocsparseL30bellmm_general_blockdim_kernelILi32ELi32E21rocsparse_complex_numIfElS2_S2_S2_EEv20rocsparse_operation_S3_20rocsparse_direction_T2_S5_NS_24const_host_device_scalarIT1_EES5_S5_PKS5_PKT3_PKT4_l16rocsparse_order_S8_PT5_lSH_21rocsparse_index_base_b,"axG",@progbits,_ZN9rocsparseL30bellmm_general_blockdim_kernelILi32ELi32E21rocsparse_complex_numIfElS2_S2_S2_EEv20rocsparse_operation_S3_20rocsparse_direction_T2_S5_NS_24const_host_device_scalarIT1_EES5_S5_PKS5_PKT3_PKT4_l16rocsparse_order_S8_PT5_lSH_21rocsparse_index_base_b,comdat
	.globl	_ZN9rocsparseL30bellmm_general_blockdim_kernelILi32ELi32E21rocsparse_complex_numIfElS2_S2_S2_EEv20rocsparse_operation_S3_20rocsparse_direction_T2_S5_NS_24const_host_device_scalarIT1_EES5_S5_PKS5_PKT3_PKT4_l16rocsparse_order_S8_PT5_lSH_21rocsparse_index_base_b ; -- Begin function _ZN9rocsparseL30bellmm_general_blockdim_kernelILi32ELi32E21rocsparse_complex_numIfElS2_S2_S2_EEv20rocsparse_operation_S3_20rocsparse_direction_T2_S5_NS_24const_host_device_scalarIT1_EES5_S5_PKS5_PKT3_PKT4_l16rocsparse_order_S8_PT5_lSH_21rocsparse_index_base_b
	.p2align	8
	.type	_ZN9rocsparseL30bellmm_general_blockdim_kernelILi32ELi32E21rocsparse_complex_numIfElS2_S2_S2_EEv20rocsparse_operation_S3_20rocsparse_direction_T2_S5_NS_24const_host_device_scalarIT1_EES5_S5_PKS5_PKT3_PKT4_l16rocsparse_order_S8_PT5_lSH_21rocsparse_index_base_b,@function
_ZN9rocsparseL30bellmm_general_blockdim_kernelILi32ELi32E21rocsparse_complex_numIfElS2_S2_S2_EEv20rocsparse_operation_S3_20rocsparse_direction_T2_S5_NS_24const_host_device_scalarIT1_EES5_S5_PKS5_PKT3_PKT4_l16rocsparse_order_S8_PT5_lSH_21rocsparse_index_base_b: ; @_ZN9rocsparseL30bellmm_general_blockdim_kernelILi32ELi32E21rocsparse_complex_numIfElS2_S2_S2_EEv20rocsparse_operation_S3_20rocsparse_direction_T2_S5_NS_24const_host_device_scalarIT1_EES5_S5_PKS5_PKT3_PKT4_l16rocsparse_order_S8_PT5_lSH_21rocsparse_index_base_b
; %bb.0:
	s_mov_b64 s[74:75], s[2:3]
	s_mov_b64 s[72:73], s[0:1]
	s_add_u32 s72, s72, s8
	s_addc_u32 s73, s73, 0
	s_load_dwordx4 s[24:27], s[4:5], 0x78
	s_load_dwordx2 s[2:3], s[4:5], 0x60
	s_load_dwordx8 s[8:15], s[4:5], 0x10
	s_add_u32 s1, s4, 32
	s_mov_b32 s0, s7
	s_addc_u32 s7, s5, 0
	s_add_u32 s16, s4, 0x60
	s_addc_u32 s17, s5, 0
	s_waitcnt lgkmcnt(0)
	s_bitcmp1_b32 s26, 0
	s_cselect_b32 s7, s7, s13
	s_cselect_b32 s1, s1, s12
	v_mov_b32_e32 v2, s1
	v_mov_b32_e32 v3, s7
	flat_load_dwordx2 v[22:23], v[2:3]
	s_cselect_b32 s1, s17, s3
	s_cselect_b32 s2, s16, s2
	v_mov_b32_e32 v2, s2
	v_mov_b32_e32 v3, s1
	flat_load_dwordx2 v[24:25], v[2:3]
	s_waitcnt vmcnt(0) lgkmcnt(0)
	v_cmp_eq_f32_e32 vcc, 0, v22
	v_cmp_eq_f32_e64 s[2:3], 0, v23
	s_and_b64 s[16:17], vcc, s[2:3]
	s_mov_b64 s[2:3], -1
	s_and_saveexec_b64 s[12:13], s[16:17]
; %bb.1:
	v_cmp_neq_f32_e32 vcc, 1.0, v24
	v_cmp_neq_f32_e64 s[2:3], 0, v25
	s_or_b64 s[2:3], vcc, s[2:3]
	s_orn2_b64 s[2:3], s[2:3], exec
; %bb.2:
	s_or_b64 exec, exec, s[12:13]
	s_and_saveexec_b64 s[12:13], s[2:3]
	s_cbranch_execz .LBB7_54
; %bb.3:
	s_load_dwordx2 s[26:27], s[4:5], 0x30
	s_mov_b32 s7, 0
	v_mov_b32_e32 v2, s6
	v_mov_b32_e32 v3, s7
	v_cmp_le_i64_e32 vcc, s[8:9], v[2:3]
	v_cmp_gt_i64_e64 s[2:3], s[8:9], v[2:3]
	s_mov_b64 s[28:29], 0
	s_cbranch_vccnz .LBB7_7
; %bb.4:
	s_waitcnt lgkmcnt(0)
	s_or_b64 s[12:13], s[14:15], s[26:27]
	s_mov_b32 s12, s7
	s_cmp_lg_u64 s[12:13], 0
	s_cbranch_scc0 .LBB7_55
; %bb.5:
	s_ashr_i32 s12, s27, 31
	s_add_u32 s16, s26, s12
	s_mov_b32 s13, s12
	s_addc_u32 s17, s27, s12
	s_xor_b64 s[18:19], s[16:17], s[12:13]
	v_cvt_f32_u32_e32 v2, s18
	v_cvt_f32_u32_e32 v3, s19
	s_sub_u32 s1, 0, s18
	s_subb_u32 s7, 0, s19
	v_madmk_f32 v2, v3, 0x4f800000, v2
	v_rcp_f32_e32 v2, v2
	v_mul_f32_e32 v2, 0x5f7ffffc, v2
	v_mul_f32_e32 v3, 0x2f800000, v2
	v_trunc_f32_e32 v3, v3
	v_madmk_f32 v2, v3, 0xcf800000, v2
	v_cvt_u32_f32_e32 v3, v3
	v_cvt_u32_f32_e32 v2, v2
	v_readfirstlane_b32 s22, v3
	v_readfirstlane_b32 s20, v2
	s_mul_i32 s21, s1, s22
	s_mul_hi_u32 s28, s1, s20
	s_mul_i32 s23, s7, s20
	s_add_i32 s21, s28, s21
	s_add_i32 s21, s21, s23
	s_mul_i32 s29, s1, s20
	s_mul_i32 s28, s20, s21
	s_mul_hi_u32 s30, s20, s29
	s_mul_hi_u32 s23, s20, s21
	s_add_u32 s28, s30, s28
	s_addc_u32 s23, 0, s23
	s_mul_hi_u32 s31, s22, s29
	s_mul_i32 s29, s22, s29
	s_add_u32 s28, s28, s29
	s_mul_hi_u32 s30, s22, s21
	s_addc_u32 s23, s23, s31
	s_addc_u32 s28, s30, 0
	s_mul_i32 s21, s22, s21
	s_add_u32 s21, s23, s21
	s_addc_u32 s23, 0, s28
	s_add_u32 s28, s20, s21
	s_cselect_b64 s[20:21], -1, 0
	s_cmp_lg_u64 s[20:21], 0
	s_addc_u32 s22, s22, s23
	s_mul_i32 s20, s1, s22
	s_mul_hi_u32 s21, s1, s28
	s_add_i32 s20, s21, s20
	s_mul_i32 s7, s7, s28
	s_add_i32 s20, s20, s7
	s_mul_i32 s1, s1, s28
	s_mul_hi_u32 s21, s22, s1
	s_mul_i32 s23, s22, s1
	s_mul_i32 s30, s28, s20
	s_mul_hi_u32 s1, s28, s1
	s_mul_hi_u32 s29, s28, s20
	s_add_u32 s1, s1, s30
	s_addc_u32 s29, 0, s29
	s_add_u32 s1, s1, s23
	s_mul_hi_u32 s7, s22, s20
	s_addc_u32 s1, s29, s21
	s_addc_u32 s7, s7, 0
	s_mul_i32 s20, s22, s20
	s_add_u32 s1, s1, s20
	s_addc_u32 s7, 0, s7
	s_add_u32 s1, s28, s1
	s_cselect_b64 s[20:21], -1, 0
	s_cmp_lg_u64 s[20:21], 0
	s_addc_u32 s7, s22, s7
	s_ashr_i32 s20, s15, 31
	s_add_u32 s22, s14, s20
	s_mov_b32 s21, s20
	s_addc_u32 s23, s15, s20
	s_xor_b64 s[22:23], s[22:23], s[20:21]
	s_mul_i32 s28, s22, s7
	s_mul_hi_u32 s29, s22, s1
	s_mul_hi_u32 s15, s22, s7
	s_add_u32 s28, s29, s28
	s_addc_u32 s15, 0, s15
	s_mul_hi_u32 s30, s23, s1
	s_mul_i32 s1, s23, s1
	s_add_u32 s1, s28, s1
	s_mul_hi_u32 s29, s23, s7
	s_addc_u32 s1, s15, s30
	s_addc_u32 s15, s29, 0
	s_mul_i32 s7, s23, s7
	s_add_u32 s1, s1, s7
	s_addc_u32 s7, 0, s15
	s_mul_i32 s15, s18, s7
	s_mul_hi_u32 s28, s18, s1
	s_add_i32 s15, s28, s15
	s_mul_i32 s28, s19, s1
	s_add_i32 s15, s15, s28
	s_sub_i32 s30, s23, s15
	s_mul_i32 s28, s18, s1
	s_sub_u32 s22, s22, s28
	s_cselect_b64 s[28:29], -1, 0
	s_cmp_lg_u64 s[28:29], 0
	s_subb_u32 s33, s30, s19
	s_sub_u32 s34, s22, s18
	s_cselect_b64 s[30:31], -1, 0
	s_cmp_lg_u64 s[30:31], 0
	s_subb_u32 s30, s33, 0
	s_cmp_ge_u32 s30, s19
	s_cselect_b32 s31, -1, 0
	s_cmp_ge_u32 s34, s18
	s_cselect_b32 s33, -1, 0
	s_cmp_eq_u32 s30, s19
	s_cselect_b32 s30, s33, s31
	s_add_u32 s31, s1, 1
	s_addc_u32 s33, s7, 0
	s_add_u32 s34, s1, 2
	s_addc_u32 s35, s7, 0
	s_cmp_lg_u32 s30, 0
	s_cselect_b32 s30, s34, s31
	s_cselect_b32 s31, s35, s33
	s_cmp_lg_u64 s[28:29], 0
	s_subb_u32 s15, s23, s15
	s_cmp_ge_u32 s15, s19
	s_cselect_b32 s23, -1, 0
	s_cmp_ge_u32 s22, s18
	s_cselect_b32 s18, -1, 0
	s_cmp_eq_u32 s15, s19
	s_cselect_b32 s15, s18, s23
	s_cmp_lg_u32 s15, 0
	s_cselect_b32 s19, s31, s7
	s_cselect_b32 s18, s30, s1
	s_xor_b64 s[12:13], s[20:21], s[12:13]
	s_xor_b64 s[18:19], s[18:19], s[12:13]
	s_sub_u32 s28, s18, s12
	s_subb_u32 s29, s19, s13
	s_cbranch_execnz .LBB7_7
.LBB7_6:
	v_cvt_f32_u32_e32 v2, s26
	s_sub_i32 s1, 0, s26
	s_mov_b32 s29, 0
	v_rcp_iflag_f32_e32 v2, v2
	v_mul_f32_e32 v2, 0x4f7ffffe, v2
	v_cvt_u32_f32_e32 v2, v2
	v_readfirstlane_b32 s7, v2
	s_mul_i32 s1, s1, s7
	s_mul_hi_u32 s1, s7, s1
	s_add_i32 s7, s7, s1
	s_mul_hi_u32 s1, s14, s7
	s_mul_i32 s12, s1, s26
	s_sub_i32 s12, s14, s12
	s_add_i32 s7, s1, 1
	s_sub_i32 s13, s12, s26
	s_cmp_ge_u32 s12, s26
	s_cselect_b32 s1, s7, s1
	s_cselect_b32 s12, s13, s12
	s_add_i32 s7, s1, 1
	s_cmp_ge_u32 s12, s26
	s_cselect_b32 s28, s7, s1
.LBB7_7:
	s_waitcnt lgkmcnt(0)
	v_cmp_lt_i64_e64 s[12:13], s[26:27], 1
	s_and_b64 vcc, exec, s[12:13]
	s_cbranch_vccnz .LBB7_54
; %bb.8:
	s_lshl_b32 s0, s0, 5
	v_add_co_u32_e32 v62, vcc, s0, v1
	v_addc_co_u32_e64 v63, s[0:1], 0, 0, vcc
	s_load_dwordx4 s[36:39], s[4:5], 0x0
	s_load_dwordx4 s[20:23], s[4:5], 0x68
	s_waitcnt lgkmcnt(0)
	s_load_dword s39, s[4:5], 0x58
	s_mul_i32 s0, s27, s6
	s_mul_hi_u32 s1, s26, s6
	s_add_i32 s31, s1, s0
	s_mul_i32 s0, s26, s27
	s_mul_hi_u32 s1, s26, s26
	s_add_i32 s1, s1, s0
	s_add_i32 s7, s1, s0
	s_cmpk_eq_i32 s37, 0x6f
	s_load_dwordx8 s[12:19], s[4:5], 0x38
                                        ; kill: killed $sgpr4 killed $sgpr5
	s_cselect_b64 s[4:5], -1, 0
	s_waitcnt lgkmcnt(0)
	s_cmp_lg_u32 s39, 1
	s_cselect_b64 s[46:47], -1, 0
	s_cmp_lg_u32 s38, 0
	v_cmp_gt_i64_e64 s[0:1], s[10:11], v[62:63]
	s_cselect_b64 s[10:11], -1, 0
	s_cmpk_eq_i32 s37, 0x71
	v_lshlrev_b64 v[4:5], 3, v[62:63]
	s_cselect_b64 s[40:41], -1, 0
	s_cmpk_lg_i32 s37, 0x71
	s_cselect_b64 s[38:39], -1, 0
	s_cmpk_lg_i32 s36, 0x71
	v_mov_b32_e32 v2, s17
	v_add_co_u32_e32 v47, vcc, s16, v4
	s_cselect_b64 s[42:43], -1, 0
	v_addc_co_u32_e32 v48, vcc, v2, v5, vcc
	s_or_b64 s[36:37], s[42:43], s[38:39]
	s_and_b64 s[38:39], s[42:43], s[40:41]
	s_or_b64 s[40:41], s[42:43], s[40:41]
	v_mul_lo_u32 v2, s23, v62
	v_mul_lo_u32 v4, s22, v63
	v_mad_u64_u32 v[7:8], s[42:43], s22, v62, 0
	s_xor_b64 s[38:39], s[38:39], -1
	s_cmp_lg_u32 s24, 1
	v_add3_u32 v8, v8, v4, v2
	buffer_store_dword v7, off, s[72:75], 0 ; 4-byte Folded Spill
	s_nop 0
	buffer_store_dword v8, off, s[72:75], 0 offset:4 ; 4-byte Folded Spill
	v_mul_lo_u32 v2, s19, v62
	v_mul_lo_u32 v7, s18, v63
	v_mad_u64_u32 v[4:5], s[44:45], s18, v62, 0
	s_mov_b32 s66, s25
	v_lshlrev_b32_e32 v46, 3, v0
	v_add3_u32 v5, v5, v7, v2
	v_lshlrev_b64 v[4:5], 3, v[4:5]
	s_cselect_b64 s[24:25], -1, 0
	s_and_b64 s[42:43], s[2:3], s[0:1]
	v_cmp_neq_f32_e32 vcc, 0, v24
	v_cmp_neq_f32_e64 s[2:3], 0, v25
	s_mul_i32 s30, s26, s6
	s_or_b64 s[44:45], vcc, s[2:3]
	s_xor_b64 s[2:3], s[4:5], s[46:47]
	v_add_co_u32_e32 v4, vcc, v4, v46
	s_xor_b64 s[46:47], s[2:3], -1
	v_addc_co_u32_e32 v5, vcc, 0, v5, vcc
	s_lshl_b64 s[2:3], s[30:31], 3
	v_mov_b32_e32 v2, s3
	v_add_co_u32_e32 v8, vcc, s2, v46
	v_mov_b32_e32 v3, 0
	v_addc_co_u32_e32 v9, vcc, 0, v2, vcc
	v_lshlrev_b32_e32 v2, 3, v1
	v_mul_lo_u32 v9, s26, v9
	v_mul_lo_u32 v10, s27, v8
	v_mad_u64_u32 v[2:3], s[2:3], s26, v8, v[2:3]
	s_mul_i32 s33, s26, s26
	v_mov_b32_e32 v7, s17
	v_add_co_u32_e32 v30, vcc, s16, v4
	s_mul_i32 s2, s33, s9
	s_mul_hi_u32 s3, s33, s8
	v_addc_co_u32_e32 v31, vcc, v7, v5, vcc
	s_add_i32 s2, s3, s2
	s_mul_i32 s3, s7, s8
	v_or_b32_e32 v6, 0x2000, v46
	v_lshlrev_b32_e32 v49, 8, v1
	v_add3_u32 v3, v10, v3, v9
	v_mov_b32_e32 v4, s15
	v_add_co_u32_e32 v32, vcc, s14, v2
	s_add_i32 s3, s2, s3
	s_mul_i32 s2, s33, s8
	v_cmp_gt_i64_e64 s[52:53], s[28:29], 0
	s_mov_b64 s[34:35], 0
	v_add_u32_e32 v50, 0x2000, v49
	s_lshl_b64 s[16:17], s[26:27], 3
	v_addc_co_u32_e32 v33, vcc, v4, v3, vcc
	s_lshl_b64 s[48:49], s[26:27], 8
	s_lshl_b64 s[50:51], s[2:3], 3
	v_add_u32_e32 v51, v6, v49
	s_branch .LBB7_10
.LBB7_9:                                ;   in Loop: Header=BB7_10 Depth=1
	s_or_b64 exec, exec, s[2:3]
	s_add_u32 s34, s34, 32
	v_mov_b32_e32 v2, s26
	s_addc_u32 s35, s35, 0
	v_mov_b32_e32 v3, s27
	v_cmp_lt_i64_e32 vcc, s[34:35], v[2:3]
	v_mov_b32_e32 v4, s49
	v_add_co_u32_e64 v32, s[2:3], s48, v32
	v_addc_co_u32_e64 v33, s[2:3], v33, v4, s[2:3]
	s_cbranch_vccz .LBB7_54
.LBB7_10:                               ; =>This Loop Header: Depth=1
                                        ;     Child Loop BB7_13 Depth 2
                                        ;       Child Loop BB7_16 Depth 3
	v_mov_b32_e32 v2, s35
	v_add_co_u32_e32 v34, vcc, s34, v0
	v_addc_co_u32_e32 v35, vcc, 0, v2, vcc
	v_cmp_gt_i64_e64 s[2:3], s[26:27], v[34:35]
	s_andn2_b64 vcc, exec, s[52:53]
	v_mov_b32_e32 v56, 0
	v_mov_b32_e32 v57, 0
	s_cbranch_vccnz .LBB7_45
; %bb.11:                               ;   in Loop: Header=BB7_10 Depth=1
	v_lshlrev_b64 v[2:3], 3, v[34:35]
	v_mov_b32_e32 v4, s15
	v_add_co_u32_e32 v52, vcc, s14, v2
	v_mov_b32_e32 v37, v33
	v_addc_co_u32_e32 v53, vcc, v4, v3, vcc
	v_mov_b32_e32 v56, 0
	s_mov_b64 s[54:55], 0
	v_mov_b32_e32 v36, v32
	v_mov_b32_e32 v57, 0
	s_branch .LBB7_13
.LBB7_12:                               ;   in Loop: Header=BB7_13 Depth=2
	s_add_u32 s54, s54, 1
	s_addc_u32 s55, s55, 0
	v_mov_b32_e32 v2, s51
	v_add_co_u32_e32 v36, vcc, s50, v36
	s_cmp_eq_u64 s[54:55], s[28:29]
	v_addc_co_u32_e32 v37, vcc, v37, v2, vcc
	s_cbranch_scc1 .LBB7_45
.LBB7_13:                               ;   Parent Loop BB7_10 Depth=1
                                        ; =>  This Loop Header: Depth=2
                                        ;       Child Loop BB7_16 Depth 3
	s_mul_i32 s4, s54, s9
	s_mul_hi_u32 s5, s54, s8
	s_add_i32 s4, s5, s4
	s_mul_i32 s5, s55, s8
	s_add_i32 s5, s4, s5
	s_mul_i32 s4, s54, s8
	s_add_u32 s4, s4, s6
	s_addc_u32 s5, s5, 0
	s_mul_i32 s56, s33, s5
	s_mul_hi_u32 s57, s33, s4
	s_add_i32 s56, s57, s56
	s_mul_i32 s57, s7, s4
	s_add_i32 s59, s56, s57
	s_lshl_b64 s[56:57], s[4:5], 3
	s_add_u32 s56, s12, s56
	s_addc_u32 s57, s13, s57
	s_load_dwordx2 s[56:57], s[56:57], 0x0
	s_mul_i32 s58, s33, s4
	v_mov_b32_e32 v41, v37
	v_mov_b32_e32 v40, v36
	s_waitcnt lgkmcnt(0)
	s_sub_u32 s4, s56, s66
	s_subb_u32 s5, s57, 0
	s_lshl_b64 s[58:59], s[58:59], 3
	v_mov_b32_e32 v2, s59
	v_add_co_u32_e32 v54, vcc, s58, v52
	v_addc_co_u32_e32 v55, vcc, v53, v2, vcc
	v_mov_b32_e32 v2, s4
	v_mad_u64_u32 v[38:39], s[58:59], s16, v2, v[30:31]
	s_mul_i32 s60, s4, s27
	s_mul_hi_u32 s61, s4, s26
	v_cmp_gt_i64_e64 s[56:57], s[4:5], -1
	s_add_i32 s60, s61, s60
	s_mul_i32 s61, s5, s26
	s_mul_i32 s68, s4, s26
	;; [unrolled: 1-line block ×4, first 2 shown]
	s_add_i32 s5, s5, s4
	s_add_i32 s67, s60, s61
	v_add_u32_e32 v39, s5, v39
	s_mov_b64 s[58:59], 0
	s_branch .LBB7_16
.LBB7_14:                               ;   in Loop: Header=BB7_16 Depth=3
	v_mov_b32_e32 v57, v61
	v_mov_b32_e32 v56, v10
.LBB7_15:                               ;   in Loop: Header=BB7_16 Depth=3
	s_add_u32 s58, s58, 32
	v_add_co_u32_e32 v38, vcc, 0x100, v38
	s_waitcnt lgkmcnt(1)
	v_mov_b32_e32 v2, s26
	s_addc_u32 s59, s59, 0
	v_addc_co_u32_e32 v39, vcc, 0, v39, vcc
	v_mov_b32_e32 v3, s27
	v_add_co_u32_e32 v40, vcc, 0x100, v40
	v_cmp_ge_i64_e64 s[4:5], s[58:59], v[2:3]
	v_addc_co_u32_e32 v41, vcc, 0, v41, vcc
	s_and_b64 vcc, exec, s[4:5]
	s_waitcnt lgkmcnt(0)
	s_barrier
	s_cbranch_vccnz .LBB7_12
.LBB7_16:                               ;   Parent Loop BB7_10 Depth=1
                                        ;     Parent Loop BB7_13 Depth=2
                                        ; =>    This Inner Loop Header: Depth=3
	v_mov_b32_e32 v2, s59
	v_add_co_u32_e32 v4, vcc, s58, v0
	v_addc_co_u32_e32 v5, vcc, 0, v2, vcc
	v_cmp_gt_i64_e32 vcc, s[26:27], v[4:5]
	s_and_b64 s[4:5], s[0:1], vcc
	s_and_b64 s[60:61], s[4:5], s[56:57]
	s_and_b64 vcc, exec, s[46:47]
	s_cbranch_vccz .LBB7_20
; %bb.17:                               ;   in Loop: Header=BB7_16 Depth=3
	s_mov_b64 s[62:63], 0
	s_mov_b64 s[4:5], 0
                                        ; implicit-def: $vgpr2_vgpr3
	s_and_saveexec_b64 s[64:65], s[60:61]
	s_xor_b64 s[64:65], exec, s[64:65]
	s_cbranch_execz .LBB7_19
; %bb.18:                               ;   in Loop: Header=BB7_16 Depth=3
	v_mov_b32_e32 v2, s67
	v_add_co_u32_e32 v3, vcc, s68, v4
	v_addc_co_u32_e32 v2, vcc, v5, v2, vcc
	v_mul_lo_u32 v4, v2, s18
	v_mul_lo_u32 v5, v3, s19
	v_mad_u64_u32 v[2:3], s[70:71], v3, s18, 0
	s_mov_b64 s[4:5], exec
	v_add3_u32 v3, v3, v5, v4
	v_lshlrev_b64 v[2:3], 3, v[2:3]
	v_add_co_u32_e32 v2, vcc, v47, v2
	v_addc_co_u32_e32 v3, vcc, v48, v3, vcc
.LBB7_19:                               ;   in Loop: Header=BB7_16 Depth=3
	s_or_b64 exec, exec, s[64:65]
	s_and_b64 vcc, exec, s[62:63]
	s_cbranch_vccnz .LBB7_21
	s_branch .LBB7_22
.LBB7_20:                               ;   in Loop: Header=BB7_16 Depth=3
	s_mov_b64 s[4:5], 0
                                        ; implicit-def: $vgpr2_vgpr3
	s_cbranch_execz .LBB7_22
.LBB7_21:                               ;   in Loop: Header=BB7_16 Depth=3
	s_andn2_b64 s[4:5], s[4:5], exec
	s_and_b64 s[60:61], s[60:61], exec
	v_mov_b32_e32 v2, v38
	s_or_b64 s[4:5], s[4:5], s[60:61]
	v_mov_b32_e32 v3, v39
.LBB7_22:                               ;   in Loop: Header=BB7_16 Depth=3
	v_mov_b32_e32 v4, 0
	v_mov_b32_e32 v5, 0
	s_and_saveexec_b64 s[60:61], s[4:5]
	s_cbranch_execz .LBB7_24
; %bb.23:                               ;   in Loop: Header=BB7_16 Depth=3
	global_load_dwordx2 v[4:5], v[2:3], off
.LBB7_24:                               ;   in Loop: Header=BB7_16 Depth=3
	s_or_b64 exec, exec, s[60:61]
	v_mov_b32_e32 v2, s59
	v_add_co_u32_e32 v6, vcc, s58, v1
	v_addc_co_u32_e32 v7, vcc, 0, v2, vcc
	v_cmp_gt_i64_e32 vcc, s[26:27], v[6:7]
	s_waitcnt vmcnt(0)
	ds_write_b64 v51, v[4:5]
	s_and_b64 s[4:5], s[2:3], vcc
	s_and_b64 s[60:61], s[4:5], s[56:57]
	s_and_b64 vcc, exec, s[10:11]
	s_cbranch_vccz .LBB7_44
; %bb.25:                               ;   in Loop: Header=BB7_16 Depth=3
	s_mov_b64 s[62:63], 0
	s_mov_b64 s[4:5], 0
                                        ; implicit-def: $vgpr2_vgpr3
	s_and_saveexec_b64 s[64:65], s[60:61]
	s_xor_b64 s[64:65], exec, s[64:65]
	s_cbranch_execz .LBB7_27
; %bb.26:                               ;   in Loop: Header=BB7_16 Depth=3
	v_mul_lo_u32 v4, v7, s26
	v_mul_lo_u32 v5, v6, s27
	v_mad_u64_u32 v[2:3], s[70:71], v6, s26, 0
	s_mov_b64 s[4:5], exec
	v_add3_u32 v3, v3, v5, v4
	v_lshlrev_b64 v[2:3], 3, v[2:3]
	v_add_co_u32_e32 v2, vcc, v54, v2
	v_addc_co_u32_e32 v3, vcc, v55, v3, vcc
.LBB7_27:                               ;   in Loop: Header=BB7_16 Depth=3
	s_or_b64 exec, exec, s[64:65]
	s_and_b64 vcc, exec, s[62:63]
	s_cbranch_vccz .LBB7_29
.LBB7_28:                               ;   in Loop: Header=BB7_16 Depth=3
	s_andn2_b64 s[4:5], s[4:5], exec
	s_and_b64 s[60:61], s[60:61], exec
	v_mov_b32_e32 v2, v40
	s_or_b64 s[4:5], s[4:5], s[60:61]
	v_mov_b32_e32 v3, v41
.LBB7_29:                               ;   in Loop: Header=BB7_16 Depth=3
	v_mov_b32_e32 v4, 0
	v_mov_b32_e32 v5, 0
	s_and_saveexec_b64 s[60:61], s[4:5]
	s_cbranch_execz .LBB7_31
; %bb.30:                               ;   in Loop: Header=BB7_16 Depth=3
	global_load_dwordx2 v[4:5], v[2:3], off
.LBB7_31:                               ;   in Loop: Header=BB7_16 Depth=3
	s_or_b64 exec, exec, s[60:61]
	v_add_u32_e32 v2, v46, v49
	s_andn2_b64 vcc, exec, s[56:57]
	s_waitcnt vmcnt(0)
	ds_write_b64 v2, v[4:5]
	s_waitcnt lgkmcnt(0)
	s_barrier
	s_cbranch_vccnz .LBB7_15
; %bb.32:                               ;   in Loop: Header=BB7_16 Depth=3
	s_mov_b64 s[4:5], -1
	s_and_b64 vcc, exec, s[36:37]
                                        ; implicit-def: $vgpr10
                                        ; implicit-def: $vgpr61
	s_cbranch_vccz .LBB7_42
; %bb.33:                               ;   in Loop: Header=BB7_16 Depth=3
	s_and_b64 vcc, exec, s[38:39]
                                        ; implicit-def: $vgpr10
                                        ; implicit-def: $vgpr61
	s_cbranch_vccz .LBB7_39
; %bb.34:                               ;   in Loop: Header=BB7_16 Depth=3
	ds_read2_b64 v[2:5], v46 offset1:32
	ds_read_b64 v[42:43], v46 offset:512
	s_andn2_b64 vcc, exec, s[40:41]
	v_add_u32_e32 v60, 0x400, v46
	v_add_u32_e32 v59, 0xc00, v46
	;; [unrolled: 1-line block ×3, first 2 shown]
                                        ; implicit-def: $vgpr10
                                        ; implicit-def: $vgpr61
	s_cbranch_vccnz .LBB7_36
; %bb.35:                               ;   in Loop: Header=BB7_16 Depth=3
	ds_read_b128 v[6:9], v50
	ds_read_b128 v[11:14], v50 offset:16
	ds_read_b128 v[15:18], v50 offset:32
	;; [unrolled: 1-line block ×3, first 2 shown]
	s_mov_b64 s[4:5], 0
	s_waitcnt lgkmcnt(3)
	v_fma_f32 v10, v2, v6, v57
	v_fma_f32 v19, -v3, v7, v10
	v_fma_f32 v10, v3, v6, v56
	v_fmac_f32_e32 v19, v4, v8
	v_fmac_f32_e32 v10, v2, v7
	v_fma_f32 v6, -v5, v9, v19
	v_fmac_f32_e32 v10, v5, v8
	s_waitcnt lgkmcnt(2)
	v_fmac_f32_e32 v6, v42, v11
	v_fmac_f32_e32 v10, v4, v9
	v_fma_f32 v19, -v43, v12, v6
	ds_read2_b64 v[6:9], v46 offset0:96 offset1:128
	v_fmac_f32_e32 v10, v43, v11
	v_fmac_f32_e32 v10, v42, v12
	s_waitcnt lgkmcnt(0)
	v_fmac_f32_e32 v19, v6, v13
	v_fmac_f32_e32 v10, v7, v13
	v_fma_f32 v11, -v7, v14, v19
	v_fmac_f32_e32 v10, v6, v14
	v_fmac_f32_e32 v11, v8, v15
	;; [unrolled: 1-line block ×3, first 2 shown]
	v_fma_f32 v11, -v9, v16, v11
	v_fmac_f32_e32 v10, v8, v16
	ds_read2_b64 v[6:9], v46 offset0:160 offset1:192
	v_add_u32_e32 v16, 0x800, v46
	s_waitcnt lgkmcnt(0)
	v_fmac_f32_e32 v11, v6, v17
	v_fmac_f32_e32 v10, v7, v17
	v_fma_f32 v11, -v7, v18, v11
	v_fmac_f32_e32 v10, v6, v18
	v_fmac_f32_e32 v11, v8, v26
	;; [unrolled: 1-line block ×3, first 2 shown]
	v_fma_f32 v11, -v9, v27, v11
	v_fmac_f32_e32 v10, v8, v27
	ds_read2_b64 v[6:9], v60 offset0:96 offset1:128
	s_waitcnt lgkmcnt(0)
	v_fmac_f32_e32 v11, v6, v28
	v_fma_f32 v15, -v7, v29, v11
	ds_read_b128 v[11:14], v50 offset:64
	v_fmac_f32_e32 v10, v7, v28
	v_fmac_f32_e32 v10, v6, v29
	s_waitcnt lgkmcnt(0)
	v_fmac_f32_e32 v15, v8, v11
	v_fmac_f32_e32 v10, v9, v11
	v_fma_f32 v15, -v9, v12, v15
	v_fmac_f32_e32 v10, v8, v12
	ds_read2_b64 v[6:9], v16 offset0:32 offset1:64
	s_waitcnt lgkmcnt(0)
	v_fmac_f32_e32 v15, v6, v13
	v_fmac_f32_e32 v10, v7, v13
	v_fma_f32 v15, -v7, v14, v15
	v_fmac_f32_e32 v10, v6, v14
	ds_read_b128 v[11:14], v50 offset:80
	s_waitcnt lgkmcnt(0)
	v_fmac_f32_e32 v15, v8, v11
	v_fmac_f32_e32 v10, v9, v11
	v_fma_f32 v15, -v9, v12, v15
	v_fmac_f32_e32 v10, v8, v12
	ds_read2_b64 v[6:9], v16 offset0:96 offset1:128
	s_waitcnt lgkmcnt(0)
	v_fmac_f32_e32 v15, v6, v13
	v_fmac_f32_e32 v10, v7, v13
	v_fma_f32 v15, -v7, v14, v15
	v_fmac_f32_e32 v10, v6, v14
	ds_read_b128 v[11:14], v50 offset:96
	s_waitcnt lgkmcnt(0)
	v_fmac_f32_e32 v15, v8, v11
	v_fmac_f32_e32 v10, v9, v11
	v_fma_f32 v15, -v9, v12, v15
	v_fmac_f32_e32 v10, v8, v12
	ds_read2_b64 v[6:9], v16 offset0:160 offset1:192
	v_add_u32_e32 v16, 0x1000, v46
	s_waitcnt lgkmcnt(0)
	v_fmac_f32_e32 v15, v6, v13
	v_fmac_f32_e32 v10, v7, v13
	v_fma_f32 v15, -v7, v14, v15
	v_fmac_f32_e32 v10, v6, v14
	ds_read_b128 v[11:14], v50 offset:112
	s_waitcnt lgkmcnt(0)
	v_fmac_f32_e32 v15, v8, v11
	v_fmac_f32_e32 v10, v9, v11
	v_fma_f32 v15, -v9, v12, v15
	v_fmac_f32_e32 v10, v8, v12
	ds_read2_b64 v[6:9], v59 offset0:96 offset1:128
	s_waitcnt lgkmcnt(0)
	v_fmac_f32_e32 v15, v6, v13
	v_fmac_f32_e32 v10, v7, v13
	v_fma_f32 v15, -v7, v14, v15
	v_fmac_f32_e32 v10, v6, v14
	ds_read_b128 v[11:14], v50 offset:128
	s_waitcnt lgkmcnt(0)
	v_fmac_f32_e32 v15, v8, v11
	v_fmac_f32_e32 v10, v9, v11
	v_fma_f32 v15, -v9, v12, v15
	v_fmac_f32_e32 v10, v8, v12
	ds_read2_b64 v[6:9], v16 offset0:32 offset1:64
	s_waitcnt lgkmcnt(0)
	v_fmac_f32_e32 v15, v6, v13
	v_fmac_f32_e32 v10, v7, v13
	v_fma_f32 v15, -v7, v14, v15
	v_fmac_f32_e32 v10, v6, v14
	ds_read_b128 v[11:14], v50 offset:144
	s_waitcnt lgkmcnt(0)
	v_fmac_f32_e32 v15, v8, v11
	v_fmac_f32_e32 v10, v9, v11
	v_fma_f32 v15, -v9, v12, v15
	v_fmac_f32_e32 v10, v8, v12
	ds_read2_b64 v[6:9], v16 offset0:96 offset1:128
	s_waitcnt lgkmcnt(0)
	v_fmac_f32_e32 v15, v6, v13
	v_fmac_f32_e32 v10, v7, v13
	v_fma_f32 v15, -v7, v14, v15
	v_fmac_f32_e32 v10, v6, v14
	ds_read_b128 v[11:14], v50 offset:160
	s_waitcnt lgkmcnt(0)
	v_fmac_f32_e32 v15, v8, v11
	v_fmac_f32_e32 v10, v9, v11
	v_fma_f32 v15, -v9, v12, v15
	v_fmac_f32_e32 v10, v8, v12
	ds_read2_b64 v[6:9], v16 offset0:160 offset1:192
	v_add_u32_e32 v16, 0x1800, v46
	s_waitcnt lgkmcnt(0)
	v_fmac_f32_e32 v15, v6, v13
	v_fmac_f32_e32 v10, v7, v13
	v_fma_f32 v15, -v7, v14, v15
	v_fmac_f32_e32 v10, v6, v14
	ds_read_b128 v[11:14], v50 offset:176
	s_waitcnt lgkmcnt(0)
	v_fmac_f32_e32 v15, v8, v11
	v_fmac_f32_e32 v10, v9, v11
	v_fma_f32 v15, -v9, v12, v15
	v_fmac_f32_e32 v10, v8, v12
	ds_read2_b64 v[6:9], v58 offset0:96 offset1:128
	s_waitcnt lgkmcnt(0)
	v_fmac_f32_e32 v15, v6, v13
	v_fmac_f32_e32 v10, v7, v13
	v_fma_f32 v15, -v7, v14, v15
	v_fmac_f32_e32 v10, v6, v14
	ds_read_b128 v[11:14], v50 offset:192
	s_waitcnt lgkmcnt(0)
	v_fmac_f32_e32 v15, v8, v11
	v_fmac_f32_e32 v10, v9, v11
	v_fma_f32 v15, -v9, v12, v15
	v_fmac_f32_e32 v10, v8, v12
	ds_read2_b64 v[6:9], v16 offset0:32 offset1:64
	;; [unrolled: 12-line block ×3, first 2 shown]
	s_waitcnt lgkmcnt(0)
	v_fmac_f32_e32 v15, v6, v13
	v_fmac_f32_e32 v10, v7, v13
	v_fma_f32 v15, -v7, v14, v15
	v_fmac_f32_e32 v10, v6, v14
	ds_read_b128 v[11:14], v50 offset:224
	s_waitcnt lgkmcnt(0)
	v_fmac_f32_e32 v15, v8, v11
	v_fma_f32 v6, -v9, v12, v15
	ds_read2_b64 v[15:18], v16 offset0:160 offset1:192
	v_fmac_f32_e32 v10, v9, v11
	v_fmac_f32_e32 v10, v8, v12
	s_waitcnt lgkmcnt(0)
	v_fmac_f32_e32 v6, v15, v13
	v_fma_f32 v11, -v16, v14, v6
	ds_read_b128 v[6:9], v50 offset:240
	v_fmac_f32_e32 v10, v16, v13
	v_fmac_f32_e32 v10, v15, v14
	s_waitcnt lgkmcnt(0)
	v_fmac_f32_e32 v11, v17, v6
	v_fmac_f32_e32 v10, v18, v6
	v_fma_f32 v11, -v18, v7, v11
	v_fmac_f32_e32 v10, v17, v7
	ds_read_b64 v[6:7], v46 offset:7936
	s_waitcnt lgkmcnt(0)
	v_fmac_f32_e32 v11, v6, v8
	v_fmac_f32_e32 v10, v7, v8
	v_fma_f32 v61, -v7, v9, v11
	v_fmac_f32_e32 v10, v6, v9
.LBB7_36:                               ;   in Loop: Header=BB7_16 Depth=3
	s_andn2_b64 vcc, exec, s[4:5]
	s_cbranch_vccnz .LBB7_38
; %bb.37:                               ;   in Loop: Header=BB7_16 Depth=3
	ds_read_b128 v[18:21], v50
	ds_read_b128 v[14:17], v50 offset:16
	ds_read_b128 v[10:13], v50 offset:32
	;; [unrolled: 1-line block ×3, first 2 shown]
	ds_read_b64 v[44:45], v46 offset:7936
	s_waitcnt lgkmcnt(4)
	v_fma_f32 v61, v2, v18, v57
	v_fmac_f32_e32 v61, v3, v19
	v_fma_f32 v3, -v3, v18, v56
	v_fmac_f32_e32 v3, v2, v19
	v_fmac_f32_e32 v61, v4, v20
	v_fma_f32 v18, -v5, v20, v3
	v_fmac_f32_e32 v61, v5, v21
	v_fmac_f32_e32 v18, v4, v21
	ds_read2_b64 v[2:5], v46 offset0:96 offset1:128
	s_waitcnt lgkmcnt(4)
	v_fmac_f32_e32 v61, v42, v14
	v_fmac_f32_e32 v61, v43, v15
	v_fma_f32 v14, -v43, v14, v18
	v_fmac_f32_e32 v14, v42, v15
	s_waitcnt lgkmcnt(0)
	v_fmac_f32_e32 v61, v2, v16
	v_fmac_f32_e32 v61, v3, v17
	v_fma_f32 v3, -v3, v16, v14
	v_fmac_f32_e32 v3, v2, v17
	ds_read2_b64 v[14:17], v46 offset0:160 offset1:192
	v_fmac_f32_e32 v61, v4, v10
	v_fmac_f32_e32 v61, v5, v11
	v_fma_f32 v2, -v5, v10, v3
	v_fmac_f32_e32 v2, v4, v11
	s_waitcnt lgkmcnt(0)
	v_fmac_f32_e32 v61, v14, v12
	v_fmac_f32_e32 v61, v15, v13
	v_fma_f32 v15, -v15, v12, v2
	v_fmac_f32_e32 v15, v14, v13
	ds_read2_b64 v[2:5], v60 offset0:96 offset1:128
	ds_read_b128 v[10:13], v50 offset:64
	v_fmac_f32_e32 v61, v16, v6
	v_fmac_f32_e32 v61, v17, v7
	v_fma_f32 v6, -v17, v6, v15
	v_fmac_f32_e32 v6, v16, v7
	s_waitcnt lgkmcnt(1)
	v_fmac_f32_e32 v61, v2, v8
	v_fmac_f32_e32 v61, v3, v9
	v_fma_f32 v3, -v3, v8, v6
	v_add_u32_e32 v18, 0x800, v46
	v_fmac_f32_e32 v3, v2, v9
	ds_read2_b64 v[6:9], v18 offset0:32 offset1:64
	s_waitcnt lgkmcnt(1)
	v_fmac_f32_e32 v61, v4, v10
	v_fma_f32 v10, -v5, v10, v3
	v_fmac_f32_e32 v61, v5, v11
	v_fmac_f32_e32 v10, v4, v11
	ds_read_b128 v[2:5], v50 offset:80
	s_waitcnt lgkmcnt(1)
	v_fmac_f32_e32 v61, v6, v12
	v_fmac_f32_e32 v61, v7, v13
	v_fma_f32 v7, -v7, v12, v10
	v_fmac_f32_e32 v7, v6, v13
	ds_read2_b64 v[10:13], v18 offset0:96 offset1:128
	ds_read_b128 v[14:17], v50 offset:96
	s_waitcnt lgkmcnt(2)
	v_fmac_f32_e32 v61, v8, v2
	v_fma_f32 v2, -v9, v2, v7
	v_fmac_f32_e32 v61, v9, v3
	v_fmac_f32_e32 v2, v8, v3
	s_waitcnt lgkmcnt(1)
	v_fmac_f32_e32 v61, v10, v4
	v_fma_f32 v6, -v11, v4, v2
	v_fmac_f32_e32 v61, v11, v5
	v_fmac_f32_e32 v6, v10, v5
	ds_read2_b64 v[2:5], v18 offset0:160 offset1:192
	s_waitcnt lgkmcnt(1)
	v_fmac_f32_e32 v61, v12, v14
	v_fmac_f32_e32 v61, v13, v15
	v_fma_f32 v10, -v13, v14, v6
	ds_read_b128 v[6:9], v50 offset:112
	v_fmac_f32_e32 v10, v12, v15
	s_waitcnt lgkmcnt(1)
	v_fmac_f32_e32 v61, v2, v16
	v_fmac_f32_e32 v61, v3, v17
	v_fma_f32 v3, -v3, v16, v10
	v_fmac_f32_e32 v3, v2, v17
	ds_read2_b64 v[10:13], v59 offset0:96 offset1:128
	ds_read_b128 v[14:17], v50 offset:128
	s_waitcnt lgkmcnt(2)
	v_fma_f32 v2, -v5, v6, v3
	v_fmac_f32_e32 v61, v4, v6
	v_fmac_f32_e32 v2, v4, v7
	v_add_u32_e32 v18, 0x1000, v46
	v_fmac_f32_e32 v61, v5, v7
	s_waitcnt lgkmcnt(1)
	v_fma_f32 v6, -v11, v8, v2
	ds_read2_b64 v[2:5], v18 offset0:32 offset1:64
	v_fmac_f32_e32 v61, v10, v8
	v_fmac_f32_e32 v61, v11, v9
	;; [unrolled: 1-line block ×3, first 2 shown]
	s_waitcnt lgkmcnt(1)
	v_fmac_f32_e32 v61, v12, v14
	v_fmac_f32_e32 v61, v13, v15
	v_fma_f32 v10, -v13, v14, v6
	ds_read_b128 v[6:9], v50 offset:144
	v_fmac_f32_e32 v10, v12, v15
	s_waitcnt lgkmcnt(1)
	v_fmac_f32_e32 v61, v2, v16
	v_fmac_f32_e32 v61, v3, v17
	v_fma_f32 v3, -v3, v16, v10
	v_fmac_f32_e32 v3, v2, v17
	ds_read2_b64 v[10:13], v18 offset0:96 offset1:128
	ds_read_b128 v[14:17], v50 offset:160
	s_waitcnt lgkmcnt(2)
	v_fma_f32 v2, -v5, v6, v3
	v_fmac_f32_e32 v61, v4, v6
	v_fmac_f32_e32 v2, v4, v7
	;; [unrolled: 1-line block ×3, first 2 shown]
	s_waitcnt lgkmcnt(1)
	v_fma_f32 v6, -v11, v8, v2
	ds_read2_b64 v[2:5], v18 offset0:160 offset1:192
	v_fmac_f32_e32 v61, v10, v8
	v_fmac_f32_e32 v61, v11, v9
	v_fmac_f32_e32 v6, v10, v9
	s_waitcnt lgkmcnt(1)
	v_fmac_f32_e32 v61, v12, v14
	v_fmac_f32_e32 v61, v13, v15
	v_fma_f32 v10, -v13, v14, v6
	ds_read_b128 v[6:9], v50 offset:176
	v_fmac_f32_e32 v10, v12, v15
	s_waitcnt lgkmcnt(1)
	v_fmac_f32_e32 v61, v2, v16
	v_fmac_f32_e32 v61, v3, v17
	v_fma_f32 v3, -v3, v16, v10
	v_fmac_f32_e32 v3, v2, v17
	ds_read2_b64 v[10:13], v58 offset0:96 offset1:128
	ds_read_b128 v[14:17], v50 offset:192
	s_waitcnt lgkmcnt(2)
	v_fma_f32 v2, -v5, v6, v3
	v_fmac_f32_e32 v61, v4, v6
	v_fmac_f32_e32 v2, v4, v7
	v_add_u32_e32 v18, 0x1800, v46
	v_fmac_f32_e32 v61, v5, v7
	s_waitcnt lgkmcnt(1)
	v_fma_f32 v6, -v11, v8, v2
	ds_read2_b64 v[2:5], v18 offset0:32 offset1:64
	v_fmac_f32_e32 v61, v10, v8
	v_fmac_f32_e32 v61, v11, v9
	;; [unrolled: 1-line block ×3, first 2 shown]
	s_waitcnt lgkmcnt(1)
	v_fmac_f32_e32 v61, v12, v14
	v_fmac_f32_e32 v61, v13, v15
	v_fma_f32 v10, -v13, v14, v6
	ds_read_b128 v[6:9], v50 offset:208
	v_fmac_f32_e32 v10, v12, v15
	s_waitcnt lgkmcnt(1)
	v_fmac_f32_e32 v61, v2, v16
	v_fmac_f32_e32 v61, v3, v17
	v_fma_f32 v3, -v3, v16, v10
	v_fmac_f32_e32 v3, v2, v17
	ds_read2_b64 v[10:13], v18 offset0:96 offset1:128
	ds_read_b128 v[14:17], v50 offset:224
	s_waitcnt lgkmcnt(2)
	v_fma_f32 v2, -v5, v6, v3
	v_fmac_f32_e32 v61, v4, v6
	v_fmac_f32_e32 v2, v4, v7
	;; [unrolled: 1-line block ×3, first 2 shown]
	s_waitcnt lgkmcnt(1)
	v_fma_f32 v6, -v11, v8, v2
	ds_read2_b64 v[2:5], v18 offset0:160 offset1:192
	v_fmac_f32_e32 v61, v10, v8
	v_fmac_f32_e32 v61, v11, v9
	;; [unrolled: 1-line block ×3, first 2 shown]
	s_waitcnt lgkmcnt(1)
	v_fmac_f32_e32 v61, v12, v14
	v_fma_f32 v10, -v13, v14, v6
	ds_read_b128 v[6:9], v50 offset:240
	v_fmac_f32_e32 v61, v13, v15
	v_fmac_f32_e32 v10, v12, v15
	s_waitcnt lgkmcnt(1)
	v_fmac_f32_e32 v61, v2, v16
	v_fmac_f32_e32 v61, v3, v17
	v_fma_f32 v3, -v3, v16, v10
	v_fmac_f32_e32 v3, v2, v17
	s_waitcnt lgkmcnt(0)
	v_fmac_f32_e32 v61, v4, v6
	v_fma_f32 v2, -v5, v6, v3
	v_fmac_f32_e32 v61, v5, v7
	v_fmac_f32_e32 v2, v4, v7
	;; [unrolled: 1-line block ×3, first 2 shown]
	v_fma_f32 v10, -v45, v8, v2
	v_fmac_f32_e32 v61, v45, v9
	v_fmac_f32_e32 v10, v44, v9
.LBB7_38:                               ;   in Loop: Header=BB7_16 Depth=3
	s_mov_b64 s[4:5], 0
.LBB7_39:                               ;   in Loop: Header=BB7_16 Depth=3
	s_andn2_b64 vcc, exec, s[4:5]
	s_cbranch_vccnz .LBB7_41
; %bb.40:                               ;   in Loop: Header=BB7_16 Depth=3
	s_waitcnt lgkmcnt(1)
	ds_read2_b64 v[2:5], v46 offset1:32
	ds_read_b128 v[6:9], v50
	ds_read_b128 v[10:13], v50 offset:16
	ds_read_b128 v[14:17], v50 offset:32
	ds_read_b128 v[18:21], v50 offset:48
	s_waitcnt lgkmcnt(5)
	ds_read2_b64 v[42:45], v46 offset0:64 offset1:96
	s_waitcnt lgkmcnt(4)
	v_fma_f32 v61, v2, v6, v57
	v_fmac_f32_e32 v61, v3, v7
	v_fma_f32 v3, v3, v6, v56
	v_fma_f32 v2, v2, -v7, v3
	v_fmac_f32_e32 v2, v5, v8
	v_fma_f32 v2, v4, -v9, v2
	v_fmac_f32_e32 v61, v4, v8
	s_waitcnt lgkmcnt(0)
	v_fmac_f32_e32 v2, v43, v10
	v_fmac_f32_e32 v61, v5, v9
	v_fma_f32 v6, v42, -v11, v2
	ds_read2_b64 v[2:5], v46 offset0:128 offset1:160
	v_fmac_f32_e32 v61, v42, v10
	v_fmac_f32_e32 v61, v43, v11
	;; [unrolled: 1-line block ×4, first 2 shown]
	v_fma_f32 v6, v44, -v13, v6
	v_fmac_f32_e32 v61, v45, v13
	s_waitcnt lgkmcnt(0)
	v_fmac_f32_e32 v6, v3, v14
	v_fmac_f32_e32 v61, v2, v14
	v_fma_f32 v2, v2, -v15, v6
	ds_read2_b64 v[6:9], v46 offset0:192 offset1:224
	v_fmac_f32_e32 v61, v3, v15
	v_fmac_f32_e32 v61, v4, v16
	;; [unrolled: 1-line block ×4, first 2 shown]
	v_fma_f32 v2, v4, -v17, v2
	s_waitcnt lgkmcnt(0)
	v_fmac_f32_e32 v61, v6, v18
	v_fmac_f32_e32 v2, v7, v18
	v_add_u32_e32 v18, 0x800, v46
	v_fma_f32 v6, v6, -v19, v2
	ds_read2_b64 v[2:5], v18 offset1:32
	ds_read_b128 v[10:13], v50 offset:64
	v_fmac_f32_e32 v61, v7, v19
	v_fmac_f32_e32 v6, v9, v20
	;; [unrolled: 1-line block ×3, first 2 shown]
	v_fma_f32 v14, v8, -v21, v6
	v_fmac_f32_e32 v61, v9, v21
	s_waitcnt lgkmcnt(0)
	v_fmac_f32_e32 v14, v3, v10
	ds_read_b128 v[6:9], v50 offset:80
	v_fmac_f32_e32 v61, v2, v10
	v_fma_f32 v2, v2, -v11, v14
	ds_read2_b64 v[14:17], v18 offset0:64 offset1:96
	v_fmac_f32_e32 v61, v3, v11
	v_fmac_f32_e32 v2, v5, v12
	;; [unrolled: 1-line block ×3, first 2 shown]
	v_fma_f32 v2, v4, -v13, v2
	v_fmac_f32_e32 v61, v5, v13
	s_waitcnt lgkmcnt(0)
	v_fmac_f32_e32 v2, v15, v6
	v_fmac_f32_e32 v61, v14, v6
	v_fma_f32 v6, v14, -v7, v2
	ds_read2_b64 v[2:5], v18 offset0:128 offset1:160
	ds_read_b128 v[10:13], v50 offset:96
	v_fmac_f32_e32 v61, v15, v7
	v_fmac_f32_e32 v6, v17, v8
	;; [unrolled: 1-line block ×3, first 2 shown]
	v_fma_f32 v14, v16, -v9, v6
	v_fmac_f32_e32 v61, v17, v9
	s_waitcnt lgkmcnt(0)
	v_fmac_f32_e32 v14, v3, v10
	ds_read_b128 v[6:9], v50 offset:112
	v_fmac_f32_e32 v61, v2, v10
	v_fma_f32 v2, v2, -v11, v14
	ds_read2_b64 v[14:17], v18 offset0:192 offset1:224
	v_fmac_f32_e32 v61, v3, v11
	v_fmac_f32_e32 v2, v5, v12
	;; [unrolled: 1-line block ×3, first 2 shown]
	v_fma_f32 v2, v4, -v13, v2
	v_fmac_f32_e32 v61, v5, v13
	s_waitcnt lgkmcnt(0)
	v_fmac_f32_e32 v2, v15, v6
	v_add_u32_e32 v18, 0x1000, v46
	v_fmac_f32_e32 v61, v14, v6
	v_fma_f32 v6, v14, -v7, v2
	ds_read2_b64 v[2:5], v18 offset1:32
	ds_read_b128 v[10:13], v50 offset:128
	v_fmac_f32_e32 v61, v15, v7
	v_fmac_f32_e32 v6, v17, v8
	v_fmac_f32_e32 v61, v16, v8
	v_fma_f32 v14, v16, -v9, v6
	v_fmac_f32_e32 v61, v17, v9
	s_waitcnt lgkmcnt(0)
	v_fmac_f32_e32 v14, v3, v10
	ds_read_b128 v[6:9], v50 offset:144
	v_fmac_f32_e32 v61, v2, v10
	v_fma_f32 v2, v2, -v11, v14
	ds_read2_b64 v[14:17], v18 offset0:64 offset1:96
	v_fmac_f32_e32 v61, v3, v11
	v_fmac_f32_e32 v2, v5, v12
	;; [unrolled: 1-line block ×3, first 2 shown]
	v_fma_f32 v2, v4, -v13, v2
	v_fmac_f32_e32 v61, v5, v13
	s_waitcnt lgkmcnt(0)
	v_fmac_f32_e32 v2, v15, v6
	v_fmac_f32_e32 v61, v14, v6
	v_fma_f32 v6, v14, -v7, v2
	ds_read2_b64 v[2:5], v18 offset0:128 offset1:160
	ds_read_b128 v[10:13], v50 offset:160
	v_fmac_f32_e32 v61, v15, v7
	v_fmac_f32_e32 v6, v17, v8
	v_fmac_f32_e32 v61, v16, v8
	v_fma_f32 v14, v16, -v9, v6
	v_fmac_f32_e32 v61, v17, v9
	s_waitcnt lgkmcnt(0)
	v_fmac_f32_e32 v14, v3, v10
	ds_read_b128 v[6:9], v50 offset:176
	v_fmac_f32_e32 v61, v2, v10
	v_fma_f32 v2, v2, -v11, v14
	ds_read2_b64 v[14:17], v18 offset0:192 offset1:224
	v_fmac_f32_e32 v61, v3, v11
	v_fmac_f32_e32 v2, v5, v12
	;; [unrolled: 1-line block ×3, first 2 shown]
	v_fma_f32 v2, v4, -v13, v2
	v_fmac_f32_e32 v61, v5, v13
	s_waitcnt lgkmcnt(0)
	v_fmac_f32_e32 v2, v15, v6
	v_add_u32_e32 v18, 0x1800, v46
	v_fmac_f32_e32 v61, v14, v6
	v_fma_f32 v6, v14, -v7, v2
	ds_read2_b64 v[2:5], v18 offset1:32
	ds_read_b128 v[10:13], v50 offset:192
	v_fmac_f32_e32 v61, v15, v7
	v_fmac_f32_e32 v6, v17, v8
	;; [unrolled: 1-line block ×3, first 2 shown]
	v_fma_f32 v14, v16, -v9, v6
	v_fmac_f32_e32 v61, v17, v9
	s_waitcnt lgkmcnt(0)
	v_fmac_f32_e32 v14, v3, v10
	ds_read_b128 v[6:9], v50 offset:208
	v_fmac_f32_e32 v61, v2, v10
	v_fma_f32 v2, v2, -v11, v14
	ds_read2_b64 v[14:17], v18 offset0:64 offset1:96
	v_fmac_f32_e32 v61, v3, v11
	v_fmac_f32_e32 v2, v5, v12
	;; [unrolled: 1-line block ×3, first 2 shown]
	v_fma_f32 v2, v4, -v13, v2
	v_fmac_f32_e32 v61, v5, v13
	s_waitcnt lgkmcnt(0)
	v_fmac_f32_e32 v2, v15, v6
	v_fmac_f32_e32 v61, v14, v6
	v_fma_f32 v6, v14, -v7, v2
	ds_read2_b64 v[2:5], v18 offset0:128 offset1:160
	ds_read_b128 v[10:13], v50 offset:224
	v_fmac_f32_e32 v61, v15, v7
	v_fmac_f32_e32 v6, v17, v8
	v_fmac_f32_e32 v61, v16, v8
	v_fma_f32 v14, v16, -v9, v6
	v_fmac_f32_e32 v61, v17, v9
	s_waitcnt lgkmcnt(0)
	v_fmac_f32_e32 v14, v3, v10
	ds_read_b128 v[6:9], v50 offset:240
	v_fmac_f32_e32 v61, v2, v10
	v_fma_f32 v2, v2, -v11, v14
	ds_read2_b64 v[14:17], v18 offset0:192 offset1:224
	v_fmac_f32_e32 v61, v3, v11
	v_fmac_f32_e32 v61, v4, v12
	;; [unrolled: 1-line block ×4, first 2 shown]
	v_fma_f32 v2, v4, -v13, v2
	s_waitcnt lgkmcnt(0)
	v_fmac_f32_e32 v61, v14, v6
	v_fmac_f32_e32 v2, v15, v6
	;; [unrolled: 1-line block ×3, first 2 shown]
	v_fma_f32 v2, v14, -v7, v2
	v_fmac_f32_e32 v61, v16, v8
	v_fmac_f32_e32 v2, v17, v8
	;; [unrolled: 1-line block ×3, first 2 shown]
	v_fma_f32 v10, v16, -v9, v2
.LBB7_41:                               ;   in Loop: Header=BB7_16 Depth=3
	s_mov_b64 s[4:5], 0
.LBB7_42:                               ;   in Loop: Header=BB7_16 Depth=3
	s_andn2_b64 vcc, exec, s[4:5]
	s_cbranch_vccnz .LBB7_14
; %bb.43:                               ;   in Loop: Header=BB7_16 Depth=3
	s_waitcnt lgkmcnt(1)
	ds_read2_b64 v[2:5], v46 offset1:32
	ds_read_b128 v[6:9], v50
	ds_read_b128 v[10:13], v50 offset:16
	ds_read_b128 v[14:17], v50 offset:32
	;; [unrolled: 1-line block ×3, first 2 shown]
	s_waitcnt lgkmcnt(5)
	ds_read2_b64 v[42:45], v46 offset0:64 offset1:96
	s_waitcnt lgkmcnt(4)
	v_fmac_f32_e32 v57, v2, v6
	v_fma_f32 v26, v3, -v7, v57
	v_fma_f32 v3, -v3, v6, v56
	v_fma_f32 v2, v2, -v7, v3
	v_fmac_f32_e32 v26, v4, v8
	v_fma_f32 v2, -v5, v8, v2
	v_fma_f32 v3, v5, -v9, v26
	v_fma_f32 v2, v4, -v9, v2
	s_waitcnt lgkmcnt(0)
	v_fmac_f32_e32 v3, v42, v10
	v_fma_f32 v2, -v43, v10, v2
	v_fma_f32 v6, v43, -v11, v3
	v_fma_f32 v7, v42, -v11, v2
	ds_read2_b64 v[2:5], v46 offset0:128 offset1:160
	v_fmac_f32_e32 v6, v44, v12
	v_fma_f32 v6, v45, -v13, v6
	v_fma_f32 v7, -v45, v12, v7
	v_fma_f32 v7, v44, -v13, v7
	s_waitcnt lgkmcnt(0)
	v_fmac_f32_e32 v6, v2, v14
	v_fma_f32 v10, v3, -v15, v6
	v_fma_f32 v3, -v3, v14, v7
	ds_read2_b64 v[6:9], v46 offset0:192 offset1:224
	v_fma_f32 v2, v2, -v15, v3
	v_fmac_f32_e32 v10, v4, v16
	v_fma_f32 v2, -v5, v16, v2
	v_fma_f32 v3, v5, -v17, v10
	v_fma_f32 v2, v4, -v17, v2
	s_waitcnt lgkmcnt(0)
	v_fmac_f32_e32 v3, v6, v18
	v_fma_f32 v2, -v7, v18, v2
	v_add_u32_e32 v18, 0x800, v46
	v_fma_f32 v14, v7, -v19, v3
	v_fma_f32 v6, v6, -v19, v2
	ds_read2_b64 v[2:5], v18 offset1:32
	ds_read_b128 v[10:13], v50 offset:64
	v_fmac_f32_e32 v14, v8, v20
	v_fma_f32 v14, v9, -v21, v14
	v_fma_f32 v6, -v9, v20, v6
	v_fma_f32 v15, v8, -v21, v6
	s_waitcnt lgkmcnt(0)
	v_fmac_f32_e32 v14, v2, v10
	ds_read_b128 v[6:9], v50 offset:80
	v_fma_f32 v19, v3, -v11, v14
	v_fma_f32 v3, -v3, v10, v15
	ds_read2_b64 v[14:17], v18 offset0:64 offset1:96
	v_fma_f32 v2, v2, -v11, v3
	v_fmac_f32_e32 v19, v4, v12
	v_fma_f32 v2, -v5, v12, v2
	v_fma_f32 v3, v5, -v13, v19
	v_fma_f32 v2, v4, -v13, v2
	s_waitcnt lgkmcnt(0)
	v_fmac_f32_e32 v3, v14, v6
	v_fma_f32 v2, -v15, v6, v2
	v_fma_f32 v19, v15, -v7, v3
	v_fma_f32 v6, v14, -v7, v2
	ds_read2_b64 v[2:5], v18 offset0:128 offset1:160
	ds_read_b128 v[10:13], v50 offset:96
	v_fmac_f32_e32 v19, v16, v8
	v_fma_f32 v14, v17, -v9, v19
	v_fma_f32 v6, -v17, v8, v6
	v_fma_f32 v15, v16, -v9, v6
	s_waitcnt lgkmcnt(0)
	v_fmac_f32_e32 v14, v2, v10
	ds_read_b128 v[6:9], v50 offset:112
	v_fma_f32 v19, v3, -v11, v14
	v_fma_f32 v3, -v3, v10, v15
	ds_read2_b64 v[14:17], v18 offset0:192 offset1:224
	v_fma_f32 v2, v2, -v11, v3
	v_fmac_f32_e32 v19, v4, v12
	v_fma_f32 v2, -v5, v12, v2
	v_fma_f32 v3, v5, -v13, v19
	v_fma_f32 v2, v4, -v13, v2
	s_waitcnt lgkmcnt(0)
	v_fmac_f32_e32 v3, v14, v6
	v_fma_f32 v2, -v15, v6, v2
	v_add_u32_e32 v19, 0x1000, v46
	v_fma_f32 v18, v15, -v7, v3
	v_fma_f32 v6, v14, -v7, v2
	ds_read2_b64 v[2:5], v19 offset1:32
	ds_read_b128 v[10:13], v50 offset:128
	v_fmac_f32_e32 v18, v16, v8
	v_fma_f32 v14, v17, -v9, v18
	v_fma_f32 v6, -v17, v8, v6
	v_fma_f32 v15, v16, -v9, v6
	s_waitcnt lgkmcnt(0)
	v_fmac_f32_e32 v14, v2, v10
	ds_read_b128 v[6:9], v50 offset:144
	v_fma_f32 v18, v3, -v11, v14
	v_fma_f32 v3, -v3, v10, v15
	ds_read2_b64 v[14:17], v19 offset0:64 offset1:96
	v_fma_f32 v2, v2, -v11, v3
	v_fmac_f32_e32 v18, v4, v12
	v_fma_f32 v2, -v5, v12, v2
	v_fma_f32 v3, v5, -v13, v18
	v_fma_f32 v2, v4, -v13, v2
	s_waitcnt lgkmcnt(0)
	v_fmac_f32_e32 v3, v14, v6
	v_fma_f32 v2, -v15, v6, v2
	v_fma_f32 v18, v15, -v7, v3
	v_fma_f32 v6, v14, -v7, v2
	ds_read2_b64 v[2:5], v19 offset0:128 offset1:160
	ds_read_b128 v[10:13], v50 offset:160
	v_fmac_f32_e32 v18, v16, v8
	v_fma_f32 v14, v17, -v9, v18
	v_fma_f32 v6, -v17, v8, v6
	v_fma_f32 v15, v16, -v9, v6
	s_waitcnt lgkmcnt(0)
	v_fmac_f32_e32 v14, v2, v10
	ds_read_b128 v[6:9], v50 offset:176
	;; [unrolled: 45-line block ×3, first 2 shown]
	v_fma_f32 v18, v3, -v11, v14
	v_fma_f32 v3, -v3, v10, v15
	ds_read2_b64 v[14:17], v19 offset0:192 offset1:224
	v_fma_f32 v2, v2, -v11, v3
	v_fmac_f32_e32 v18, v4, v12
	v_fma_f32 v2, -v5, v12, v2
	v_fma_f32 v3, v5, -v13, v18
	v_fma_f32 v2, v4, -v13, v2
	s_waitcnt lgkmcnt(0)
	v_fmac_f32_e32 v3, v14, v6
	v_fma_f32 v2, -v15, v6, v2
	v_fma_f32 v3, v15, -v7, v3
	v_fma_f32 v2, v14, -v7, v2
	v_fmac_f32_e32 v3, v16, v8
	v_fma_f32 v2, -v17, v8, v2
	v_fma_f32 v61, v17, -v9, v3
	v_fma_f32 v10, v16, -v9, v2
	s_branch .LBB7_14
.LBB7_44:                               ;   in Loop: Header=BB7_16 Depth=3
	s_mov_b64 s[4:5], 0
                                        ; implicit-def: $vgpr2_vgpr3
	s_cbranch_execnz .LBB7_28
	s_branch .LBB7_29
.LBB7_45:                               ;   in Loop: Header=BB7_10 Depth=1
	v_mov_b32_e32 v2, s31
	v_add_co_u32_e32 v4, vcc, s30, v34
	v_addc_co_u32_e32 v5, vcc, v35, v2, vcc
	s_mov_b64 s[2:3], -1
	s_and_b64 vcc, exec, s[24:25]
                                        ; implicit-def: $vgpr2_vgpr3
	s_cbranch_vccnz .LBB7_48
; %bb.46:                               ;   in Loop: Header=BB7_10 Depth=1
	s_andn2_b64 vcc, exec, s[2:3]
	s_cbranch_vccz .LBB7_49
.LBB7_47:                               ;   in Loop: Header=BB7_10 Depth=1
	v_cmp_gt_i64_e32 vcc, s[26:27], v[34:35]
	s_and_b64 s[4:5], s[42:43], vcc
	s_and_saveexec_b64 s[2:3], s[4:5]
	s_cbranch_execz .LBB7_9
	s_branch .LBB7_50
.LBB7_48:                               ;   in Loop: Header=BB7_10 Depth=1
	v_mad_u64_u32 v[2:3], s[2:3], v4, s22, v[62:63]
	v_mul_lo_u32 v6, v4, s23
	v_mul_lo_u32 v7, v5, s22
	v_add3_u32 v3, v7, v3, v6
	s_cbranch_execnz .LBB7_47
.LBB7_49:                               ;   in Loop: Header=BB7_10 Depth=1
	buffer_load_dword v2, off, s[72:75], 0  ; 4-byte Folded Reload
	buffer_load_dword v3, off, s[72:75], 0 offset:4 ; 4-byte Folded Reload
	s_waitcnt vmcnt(1)
	v_add_co_u32_e32 v2, vcc, v4, v2
	s_waitcnt vmcnt(0)
	v_addc_co_u32_e32 v3, vcc, v5, v3, vcc
	v_cmp_gt_i64_e32 vcc, s[26:27], v[34:35]
	s_and_b64 s[4:5], s[42:43], vcc
	s_and_saveexec_b64 s[2:3], s[4:5]
	s_cbranch_execz .LBB7_9
.LBB7_50:                               ;   in Loop: Header=BB7_10 Depth=1
	v_lshlrev_b64 v[4:5], 3, v[2:3]
	v_mul_f32_e64 v2, v56, -v23
	v_mul_f32_e32 v3, v22, v56
	v_fmac_f32_e32 v2, v22, v57
	v_fmac_f32_e32 v3, v23, v57
	s_and_saveexec_b64 s[4:5], s[44:45]
	s_xor_b64 s[4:5], exec, s[4:5]
	s_cbranch_execz .LBB7_52
; %bb.51:                               ;   in Loop: Header=BB7_10 Depth=1
	v_mov_b32_e32 v6, s21
	v_add_co_u32_e32 v4, vcc, s20, v4
	v_addc_co_u32_e32 v5, vcc, v6, v5, vcc
	global_load_dwordx2 v[6:7], v[4:5], off
	s_waitcnt vmcnt(0)
	v_fmac_f32_e32 v2, v24, v6
	v_fmac_f32_e32 v3, v25, v6
	v_fma_f32 v2, -v25, v7, v2
	v_fmac_f32_e32 v3, v24, v7
	global_store_dwordx2 v[4:5], v[2:3], off
                                        ; implicit-def: $vgpr4_vgpr5
                                        ; implicit-def: $vgpr2
.LBB7_52:                               ;   in Loop: Header=BB7_10 Depth=1
	s_andn2_saveexec_b64 s[4:5], s[4:5]
	s_cbranch_execz .LBB7_9
; %bb.53:                               ;   in Loop: Header=BB7_10 Depth=1
	v_mov_b32_e32 v6, s21
	v_add_co_u32_e32 v4, vcc, s20, v4
	v_addc_co_u32_e32 v5, vcc, v6, v5, vcc
	global_store_dwordx2 v[4:5], v[2:3], off
	s_branch .LBB7_9
.LBB7_54:
	s_endpgm
.LBB7_55:
                                        ; implicit-def: $sgpr28_sgpr29
	s_branch .LBB7_6
	.section	.rodata,"a",@progbits
	.p2align	6, 0x0
	.amdhsa_kernel _ZN9rocsparseL30bellmm_general_blockdim_kernelILi32ELi32E21rocsparse_complex_numIfElS2_S2_S2_EEv20rocsparse_operation_S3_20rocsparse_direction_T2_S5_NS_24const_host_device_scalarIT1_EES5_S5_PKS5_PKT3_PKT4_l16rocsparse_order_S8_PT5_lSH_21rocsparse_index_base_b
		.amdhsa_group_segment_fixed_size 16384
		.amdhsa_private_segment_fixed_size 12
		.amdhsa_kernarg_size 132
		.amdhsa_user_sgpr_count 6
		.amdhsa_user_sgpr_private_segment_buffer 1
		.amdhsa_user_sgpr_dispatch_ptr 0
		.amdhsa_user_sgpr_queue_ptr 0
		.amdhsa_user_sgpr_kernarg_segment_ptr 1
		.amdhsa_user_sgpr_dispatch_id 0
		.amdhsa_user_sgpr_flat_scratch_init 0
		.amdhsa_user_sgpr_private_segment_size 0
		.amdhsa_uses_dynamic_stack 0
		.amdhsa_system_sgpr_private_segment_wavefront_offset 1
		.amdhsa_system_sgpr_workgroup_id_x 1
		.amdhsa_system_sgpr_workgroup_id_y 1
		.amdhsa_system_sgpr_workgroup_id_z 0
		.amdhsa_system_sgpr_workgroup_info 0
		.amdhsa_system_vgpr_workitem_id 1
		.amdhsa_next_free_vgpr 64
		.amdhsa_next_free_sgpr 76
		.amdhsa_reserve_vcc 1
		.amdhsa_reserve_flat_scratch 0
		.amdhsa_float_round_mode_32 0
		.amdhsa_float_round_mode_16_64 0
		.amdhsa_float_denorm_mode_32 3
		.amdhsa_float_denorm_mode_16_64 3
		.amdhsa_dx10_clamp 1
		.amdhsa_ieee_mode 1
		.amdhsa_fp16_overflow 0
		.amdhsa_exception_fp_ieee_invalid_op 0
		.amdhsa_exception_fp_denorm_src 0
		.amdhsa_exception_fp_ieee_div_zero 0
		.amdhsa_exception_fp_ieee_overflow 0
		.amdhsa_exception_fp_ieee_underflow 0
		.amdhsa_exception_fp_ieee_inexact 0
		.amdhsa_exception_int_div_zero 0
	.end_amdhsa_kernel
	.section	.text._ZN9rocsparseL30bellmm_general_blockdim_kernelILi32ELi32E21rocsparse_complex_numIfElS2_S2_S2_EEv20rocsparse_operation_S3_20rocsparse_direction_T2_S5_NS_24const_host_device_scalarIT1_EES5_S5_PKS5_PKT3_PKT4_l16rocsparse_order_S8_PT5_lSH_21rocsparse_index_base_b,"axG",@progbits,_ZN9rocsparseL30bellmm_general_blockdim_kernelILi32ELi32E21rocsparse_complex_numIfElS2_S2_S2_EEv20rocsparse_operation_S3_20rocsparse_direction_T2_S5_NS_24const_host_device_scalarIT1_EES5_S5_PKS5_PKT3_PKT4_l16rocsparse_order_S8_PT5_lSH_21rocsparse_index_base_b,comdat
.Lfunc_end7:
	.size	_ZN9rocsparseL30bellmm_general_blockdim_kernelILi32ELi32E21rocsparse_complex_numIfElS2_S2_S2_EEv20rocsparse_operation_S3_20rocsparse_direction_T2_S5_NS_24const_host_device_scalarIT1_EES5_S5_PKS5_PKT3_PKT4_l16rocsparse_order_S8_PT5_lSH_21rocsparse_index_base_b, .Lfunc_end7-_ZN9rocsparseL30bellmm_general_blockdim_kernelILi32ELi32E21rocsparse_complex_numIfElS2_S2_S2_EEv20rocsparse_operation_S3_20rocsparse_direction_T2_S5_NS_24const_host_device_scalarIT1_EES5_S5_PKS5_PKT3_PKT4_l16rocsparse_order_S8_PT5_lSH_21rocsparse_index_base_b
                                        ; -- End function
	.set _ZN9rocsparseL30bellmm_general_blockdim_kernelILi32ELi32E21rocsparse_complex_numIfElS2_S2_S2_EEv20rocsparse_operation_S3_20rocsparse_direction_T2_S5_NS_24const_host_device_scalarIT1_EES5_S5_PKS5_PKT3_PKT4_l16rocsparse_order_S8_PT5_lSH_21rocsparse_index_base_b.num_vgpr, 64
	.set _ZN9rocsparseL30bellmm_general_blockdim_kernelILi32ELi32E21rocsparse_complex_numIfElS2_S2_S2_EEv20rocsparse_operation_S3_20rocsparse_direction_T2_S5_NS_24const_host_device_scalarIT1_EES5_S5_PKS5_PKT3_PKT4_l16rocsparse_order_S8_PT5_lSH_21rocsparse_index_base_b.num_agpr, 0
	.set _ZN9rocsparseL30bellmm_general_blockdim_kernelILi32ELi32E21rocsparse_complex_numIfElS2_S2_S2_EEv20rocsparse_operation_S3_20rocsparse_direction_T2_S5_NS_24const_host_device_scalarIT1_EES5_S5_PKS5_PKT3_PKT4_l16rocsparse_order_S8_PT5_lSH_21rocsparse_index_base_b.numbered_sgpr, 76
	.set _ZN9rocsparseL30bellmm_general_blockdim_kernelILi32ELi32E21rocsparse_complex_numIfElS2_S2_S2_EEv20rocsparse_operation_S3_20rocsparse_direction_T2_S5_NS_24const_host_device_scalarIT1_EES5_S5_PKS5_PKT3_PKT4_l16rocsparse_order_S8_PT5_lSH_21rocsparse_index_base_b.num_named_barrier, 0
	.set _ZN9rocsparseL30bellmm_general_blockdim_kernelILi32ELi32E21rocsparse_complex_numIfElS2_S2_S2_EEv20rocsparse_operation_S3_20rocsparse_direction_T2_S5_NS_24const_host_device_scalarIT1_EES5_S5_PKS5_PKT3_PKT4_l16rocsparse_order_S8_PT5_lSH_21rocsparse_index_base_b.private_seg_size, 12
	.set _ZN9rocsparseL30bellmm_general_blockdim_kernelILi32ELi32E21rocsparse_complex_numIfElS2_S2_S2_EEv20rocsparse_operation_S3_20rocsparse_direction_T2_S5_NS_24const_host_device_scalarIT1_EES5_S5_PKS5_PKT3_PKT4_l16rocsparse_order_S8_PT5_lSH_21rocsparse_index_base_b.uses_vcc, 1
	.set _ZN9rocsparseL30bellmm_general_blockdim_kernelILi32ELi32E21rocsparse_complex_numIfElS2_S2_S2_EEv20rocsparse_operation_S3_20rocsparse_direction_T2_S5_NS_24const_host_device_scalarIT1_EES5_S5_PKS5_PKT3_PKT4_l16rocsparse_order_S8_PT5_lSH_21rocsparse_index_base_b.uses_flat_scratch, 0
	.set _ZN9rocsparseL30bellmm_general_blockdim_kernelILi32ELi32E21rocsparse_complex_numIfElS2_S2_S2_EEv20rocsparse_operation_S3_20rocsparse_direction_T2_S5_NS_24const_host_device_scalarIT1_EES5_S5_PKS5_PKT3_PKT4_l16rocsparse_order_S8_PT5_lSH_21rocsparse_index_base_b.has_dyn_sized_stack, 0
	.set _ZN9rocsparseL30bellmm_general_blockdim_kernelILi32ELi32E21rocsparse_complex_numIfElS2_S2_S2_EEv20rocsparse_operation_S3_20rocsparse_direction_T2_S5_NS_24const_host_device_scalarIT1_EES5_S5_PKS5_PKT3_PKT4_l16rocsparse_order_S8_PT5_lSH_21rocsparse_index_base_b.has_recursion, 0
	.set _ZN9rocsparseL30bellmm_general_blockdim_kernelILi32ELi32E21rocsparse_complex_numIfElS2_S2_S2_EEv20rocsparse_operation_S3_20rocsparse_direction_T2_S5_NS_24const_host_device_scalarIT1_EES5_S5_PKS5_PKT3_PKT4_l16rocsparse_order_S8_PT5_lSH_21rocsparse_index_base_b.has_indirect_call, 0
	.section	.AMDGPU.csdata,"",@progbits
; Kernel info:
; codeLenInByte = 6884
; TotalNumSgprs: 80
; NumVgprs: 64
; ScratchSize: 12
; MemoryBound: 0
; FloatMode: 240
; IeeeMode: 1
; LDSByteSize: 16384 bytes/workgroup (compile time only)
; SGPRBlocks: 9
; VGPRBlocks: 15
; NumSGPRsForWavesPerEU: 80
; NumVGPRsForWavesPerEU: 64
; Occupancy: 4
; WaveLimiterHint : 1
; COMPUTE_PGM_RSRC2:SCRATCH_EN: 1
; COMPUTE_PGM_RSRC2:USER_SGPR: 6
; COMPUTE_PGM_RSRC2:TRAP_HANDLER: 0
; COMPUTE_PGM_RSRC2:TGID_X_EN: 1
; COMPUTE_PGM_RSRC2:TGID_Y_EN: 1
; COMPUTE_PGM_RSRC2:TGID_Z_EN: 0
; COMPUTE_PGM_RSRC2:TIDIG_COMP_CNT: 1
	.section	.text._ZN9rocsparseL30bellmm_general_blockdim_kernelILi32ELi32E21rocsparse_complex_numIdEiS2_S2_S2_EEv20rocsparse_operation_S3_20rocsparse_direction_T2_S5_NS_24const_host_device_scalarIT1_EES5_S5_PKS5_PKT3_PKT4_l16rocsparse_order_S8_PT5_lSH_21rocsparse_index_base_b,"axG",@progbits,_ZN9rocsparseL30bellmm_general_blockdim_kernelILi32ELi32E21rocsparse_complex_numIdEiS2_S2_S2_EEv20rocsparse_operation_S3_20rocsparse_direction_T2_S5_NS_24const_host_device_scalarIT1_EES5_S5_PKS5_PKT3_PKT4_l16rocsparse_order_S8_PT5_lSH_21rocsparse_index_base_b,comdat
	.globl	_ZN9rocsparseL30bellmm_general_blockdim_kernelILi32ELi32E21rocsparse_complex_numIdEiS2_S2_S2_EEv20rocsparse_operation_S3_20rocsparse_direction_T2_S5_NS_24const_host_device_scalarIT1_EES5_S5_PKS5_PKT3_PKT4_l16rocsparse_order_S8_PT5_lSH_21rocsparse_index_base_b ; -- Begin function _ZN9rocsparseL30bellmm_general_blockdim_kernelILi32ELi32E21rocsparse_complex_numIdEiS2_S2_S2_EEv20rocsparse_operation_S3_20rocsparse_direction_T2_S5_NS_24const_host_device_scalarIT1_EES5_S5_PKS5_PKT3_PKT4_l16rocsparse_order_S8_PT5_lSH_21rocsparse_index_base_b
	.p2align	8
	.type	_ZN9rocsparseL30bellmm_general_blockdim_kernelILi32ELi32E21rocsparse_complex_numIdEiS2_S2_S2_EEv20rocsparse_operation_S3_20rocsparse_direction_T2_S5_NS_24const_host_device_scalarIT1_EES5_S5_PKS5_PKT3_PKT4_l16rocsparse_order_S8_PT5_lSH_21rocsparse_index_base_b,@function
_ZN9rocsparseL30bellmm_general_blockdim_kernelILi32ELi32E21rocsparse_complex_numIdEiS2_S2_S2_EEv20rocsparse_operation_S3_20rocsparse_direction_T2_S5_NS_24const_host_device_scalarIT1_EES5_S5_PKS5_PKT3_PKT4_l16rocsparse_order_S8_PT5_lSH_21rocsparse_index_base_b: ; @_ZN9rocsparseL30bellmm_general_blockdim_kernelILi32ELi32E21rocsparse_complex_numIdEiS2_S2_S2_EEv20rocsparse_operation_S3_20rocsparse_direction_T2_S5_NS_24const_host_device_scalarIT1_EES5_S5_PKS5_PKT3_PKT4_l16rocsparse_order_S8_PT5_lSH_21rocsparse_index_base_b
; %bb.0:
	s_load_dwordx2 s[0:1], s[4:5], 0x18
	s_load_dwordx4 s[16:19], s[4:5], 0x78
	s_add_u32 s8, s4, 24
	s_addc_u32 s9, s5, 0
	s_add_u32 s10, s4, 0x58
	s_addc_u32 s11, s5, 0
	s_waitcnt lgkmcnt(0)
	s_bitcmp1_b32 s18, 0
	s_cselect_b32 s1, s9, s1
	s_cselect_b32 s0, s8, s0
	v_mov_b32_e32 v2, s0
	v_mov_b32_e32 v3, s1
	flat_load_dwordx4 v[2:5], v[2:3]
	s_load_dwordx2 s[2:3], s[4:5], 0x58
	s_waitcnt lgkmcnt(0)
	s_cselect_b32 s0, s11, s3
	s_cselect_b32 s1, s10, s2
	v_mov_b32_e32 v6, s1
	v_mov_b32_e32 v7, s0
	flat_load_dwordx4 v[6:9], v[6:7]
	s_waitcnt vmcnt(0)
	v_cmp_eq_f64_e32 vcc, 0, v[2:3]
	v_cmp_eq_f64_e64 s[0:1], 0, v[4:5]
	s_and_b64 s[8:9], vcc, s[0:1]
	s_mov_b64 s[0:1], -1
	s_and_saveexec_b64 s[2:3], s[8:9]
	s_cbranch_execz .LBB8_2
; %bb.1:
	s_waitcnt lgkmcnt(0)
	v_cmp_neq_f64_e32 vcc, 1.0, v[6:7]
	v_cmp_neq_f64_e64 s[0:1], 0, v[8:9]
	s_or_b64 s[0:1], vcc, s[0:1]
	s_orn2_b64 s[0:1], s[0:1], exec
.LBB8_2:
	s_or_b64 exec, exec, s[2:3]
	s_and_saveexec_b64 s[2:3], s[0:1]
	s_cbranch_execz .LBB8_57
; %bb.3:
	s_load_dwordx4 s[20:23], s[4:5], 0x0
	s_load_dwordx2 s[18:19], s[4:5], 0x28
	s_mov_b32 s33, 0
	s_waitcnt lgkmcnt(0)
	s_cmp_lt_i32 s6, s23
	s_cselect_b64 s[36:37], -1, 0
	s_cmp_ge_i32 s6, s23
	s_cbranch_scc1 .LBB8_5
; %bb.4:
	s_abs_i32 s0, s19
	v_cvt_f32_u32_e32 v10, s0
	s_sub_i32 s3, 0, s0
	s_abs_i32 s2, s18
	s_xor_b32 s1, s18, s19
	v_rcp_iflag_f32_e32 v10, v10
	s_ashr_i32 s1, s1, 31
	v_mul_f32_e32 v10, 0x4f7ffffe, v10
	v_cvt_u32_f32_e32 v10, v10
	v_readfirstlane_b32 s8, v10
	s_mul_i32 s3, s3, s8
	s_mul_hi_u32 s3, s8, s3
	s_add_i32 s8, s8, s3
	s_mul_hi_u32 s3, s2, s8
	s_mul_i32 s8, s3, s0
	s_sub_i32 s2, s2, s8
	s_add_i32 s9, s3, 1
	s_sub_i32 s8, s2, s0
	s_cmp_ge_u32 s2, s0
	s_cselect_b32 s3, s9, s3
	s_cselect_b32 s2, s8, s2
	s_add_i32 s8, s3, 1
	s_cmp_ge_u32 s2, s0
	s_cselect_b32 s0, s8, s3
	s_xor_b32 s0, s0, s1
	s_sub_i32 s33, s0, s1
.LBB8_5:
	s_cmp_lt_i32 s19, 1
	s_cbranch_scc1 .LBB8_57
; %bb.6:
	s_load_dwordx8 s[8:15], s[4:5], 0x30
	v_lshl_add_u32 v30, s7, 5, v1
	v_ashrrev_i32_e32 v31, 31, v30
	s_cmp_gt_i32 s33, 0
	s_mul_i32 s7, s19, s6
	s_waitcnt lgkmcnt(0)
	v_mul_lo_u32 v12, s14, v31
	v_mul_lo_u32 v13, s15, v30
	v_mad_u64_u32 v[10:11], s[0:1], s14, v30, 0
	s_load_dword s0, s[4:5], 0x10
	s_load_dwordx4 s[24:27], s[4:5], 0x68
	s_load_dword s2, s[4:5], 0x50
	s_cselect_b64 s[4:5], -1, 0
	v_add3_u32 v11, v11, v12, v13
	v_lshlrev_b64 v[12:13], 4, v[30:31]
	s_cmpk_eq_i32 s21, 0x6f
	v_mov_b32_e32 v14, s13
	v_add_co_u32_e32 v40, vcc, s12, v12
	s_cselect_b64 s[40:41], -1, 0
	s_waitcnt lgkmcnt(0)
	s_cmp_lg_u32 s2, 1
	v_lshlrev_b64 v[10:11], 4, v[10:11]
	v_addc_co_u32_e32 v41, vcc, v14, v13, vcc
	s_cselect_b64 s[42:43], -1, 0
	s_cmp_lg_u32 s22, 0
	v_mov_b32_e32 v13, s13
	v_add_co_u32_e32 v44, vcc, s12, v10
	s_cselect_b64 s[12:13], -1, 0
	s_cmpk_eq_i32 s21, 0x71
	s_cselect_b64 s[2:3], -1, 0
	s_cmpk_lg_i32 s21, 0x71
	s_cselect_b64 s[28:29], -1, 0
	s_cmpk_lg_i32 s20, 0x71
	v_addc_co_u32_e32 v45, vcc, v13, v11, vcc
	s_cselect_b64 s[30:31], -1, 0
	s_or_b64 s[20:21], s[30:31], s[28:29]
	s_and_b64 s[28:29], s[30:31], s[2:3]
	s_or_b64 s[30:31], s[30:31], s[2:3]
	v_cmp_neq_f64_e32 vcc, 0, v[6:7]
	v_cmp_neq_f64_e64 s[2:3], 0, v[8:9]
	v_mul_lo_u32 v10, s26, v31
	v_mul_lo_u32 v11, s27, v30
	v_mad_u64_u32 v[32:33], s[34:35], s26, v30, 0
	s_xor_b64 s[28:29], s[28:29], -1
	v_lshlrev_b32_e32 v42, 4, v0
	v_add3_u32 v33, v33, v10, v11
	v_add_u32_e32 v10, s7, v1
	v_mul_lo_u32 v47, s19, v10
	s_cmp_lg_u32 s16, 1
	v_or_b32_e32 v12, 0x4000, v42
	v_cmp_gt_i32_e64 s[0:1], s0, v30
	v_lshlrev_b32_e32 v43, 9, v1
	s_cselect_b64 s[34:35], -1, 0
	s_or_b64 s[38:39], vcc, s[2:3]
	s_xor_b64 s[2:3], s[40:41], s[42:43]
	s_mul_i32 s16, s19, s19
	v_cndmask_b32_e64 v10, 0, 1, s[4:5]
	s_mov_b32 s18, 0
	v_add_u32_e32 v46, 0x4000, v43
	s_and_b64 s[36:37], s[36:37], s[0:1]
	s_xor_b64 s[40:41], s[2:3], -1
	s_mul_i32 s16, s16, s23
	s_lshl_b32 s22, s19, 5
	v_cmp_ne_u32_e64 s[2:3], 1, v10
	v_mov_b32_e32 v35, 0
	v_add_u32_e32 v48, v12, v43
	s_branch .LBB8_8
.LBB8_7:                                ;   in Loop: Header=BB8_8 Depth=1
	s_or_b64 exec, exec, s[4:5]
	s_add_i32 s18, s18, 32
	s_cmp_lt_i32 s18, s19
	v_add_u32_e32 v47, 32, v47
	s_cbranch_scc0 .LBB8_57
.LBB8_8:                                ; =>This Loop Header: Depth=1
                                        ;     Child Loop BB8_11 Depth 2
                                        ;       Child Loop BB8_14 Depth 3
	v_add_u32_e32 v49, s18, v0
	v_mov_b32_e32 v36, 0
	s_and_b64 vcc, exec, s[2:3]
	v_cmp_gt_i32_e64 s[4:5], s19, v49
	v_mov_b32_e32 v37, 0
	s_cbranch_vccnz .LBB8_47
; %bb.9:                                ;   in Loop: Header=BB8_8 Depth=1
	v_mov_b32_e32 v38, 0
	s_mov_b32 s52, 0
	v_mov_b32_e32 v39, 0
	v_mov_b32_e32 v50, v47
	s_branch .LBB8_11
.LBB8_10:                               ;   in Loop: Header=BB8_11 Depth=2
	s_add_i32 s52, s52, 1
	s_cmp_eq_u32 s52, s33
	v_add_u32_e32 v50, s16, v50
	s_cbranch_scc1 .LBB8_48
.LBB8_11:                               ;   Parent Loop BB8_8 Depth=1
                                        ; =>  This Loop Header: Depth=2
                                        ;       Child Loop BB8_14 Depth 3
	s_mul_i32 s42, s52, s23
	s_add_i32 s42, s42, s6
	s_ashr_i32 s43, s42, 31
	s_lshl_b64 s[44:45], s[42:43], 2
	s_add_u32 s44, s8, s44
	s_addc_u32 s45, s9, s45
	s_load_dword s43, s[44:45], 0x0
	s_mul_i32 s42, s42, s19
	v_add_u32_e32 v10, s42, v49
	v_mul_lo_u32 v51, v10, s19
	v_add_u32_e32 v53, v0, v50
	s_waitcnt lgkmcnt(0)
	s_sub_i32 s42, s43, s17
	s_cmp_gt_i32 s42, -1
	s_mul_i32 s44, s42, s19
	s_cselect_b64 s[42:43], -1, 0
	v_add_u32_e32 v52, s44, v0
	s_mov_b32 s53, 0
	s_mov_b32 s54, 0
	s_branch .LBB8_14
.LBB8_12:                               ;   in Loop: Header=BB8_14 Depth=3
	v_mov_b32_e32 v39, v25
	v_mov_b32_e32 v37, v23
	;; [unrolled: 1-line block ×4, first 2 shown]
.LBB8_13:                               ;   in Loop: Header=BB8_14 Depth=3
	s_add_i32 s54, s54, 32
	s_add_i32 s53, s53, s22
	s_cmp_ge_i32 s54, s19
	s_waitcnt lgkmcnt(0)
	s_barrier
	s_cbranch_scc1 .LBB8_10
.LBB8_14:                               ;   Parent Loop BB8_8 Depth=1
                                        ;     Parent Loop BB8_11 Depth=2
                                        ; =>    This Inner Loop Header: Depth=3
	v_add_u32_e32 v10, s54, v0
	v_cmp_gt_i32_e32 vcc, s19, v10
	s_and_b64 s[44:45], s[0:1], vcc
	s_and_b64 s[46:47], s[44:45], s[42:43]
	s_and_b64 vcc, exec, s[40:41]
	s_cbranch_vccz .LBB8_18
; %bb.15:                               ;   in Loop: Header=BB8_14 Depth=3
	s_mov_b64 s[48:49], 0
	s_mov_b64 s[44:45], 0
                                        ; implicit-def: $vgpr14_vgpr15
	s_and_saveexec_b64 s[50:51], s[46:47]
	s_xor_b64 s[50:51], exec, s[50:51]
	s_cbranch_execz .LBB8_17
; %bb.16:                               ;   in Loop: Header=BB8_14 Depth=3
	v_add_u32_e32 v12, s54, v52
	v_mad_u64_u32 v[10:11], s[56:57], s14, v12, 0
	s_mov_b64 s[44:45], exec
	v_mad_u64_u32 v[11:12], s[56:57], s15, v12, v[11:12]
	v_lshlrev_b64 v[10:11], 4, v[10:11]
	v_add_co_u32_e32 v14, vcc, v40, v10
	v_addc_co_u32_e32 v15, vcc, v41, v11, vcc
.LBB8_17:                               ;   in Loop: Header=BB8_14 Depth=3
	s_or_b64 exec, exec, s[50:51]
	s_and_b64 vcc, exec, s[48:49]
	s_cbranch_vccnz .LBB8_19
	s_branch .LBB8_22
.LBB8_18:                               ;   in Loop: Header=BB8_14 Depth=3
	s_mov_b64 s[44:45], 0
                                        ; implicit-def: $vgpr14_vgpr15
	s_cbranch_execz .LBB8_22
.LBB8_19:                               ;   in Loop: Header=BB8_14 Depth=3
                                        ; implicit-def: $vgpr14_vgpr15
	s_and_saveexec_b64 s[48:49], s[46:47]
; %bb.20:                               ;   in Loop: Header=BB8_14 Depth=3
	v_add_u32_e32 v34, s54, v52
	v_lshlrev_b64 v[10:11], 4, v[34:35]
	s_or_b64 s[44:45], s[44:45], exec
	v_add_co_u32_e32 v14, vcc, v44, v10
	v_addc_co_u32_e32 v15, vcc, v45, v11, vcc
; %bb.21:                               ;   in Loop: Header=BB8_14 Depth=3
	s_or_b64 exec, exec, s[48:49]
.LBB8_22:                               ;   in Loop: Header=BB8_14 Depth=3
	v_mov_b32_e32 v10, 0
	v_mov_b32_e32 v12, 0
	;; [unrolled: 1-line block ×4, first 2 shown]
	s_and_saveexec_b64 s[46:47], s[44:45]
	s_cbranch_execz .LBB8_24
; %bb.23:                               ;   in Loop: Header=BB8_14 Depth=3
	global_load_dwordx4 v[10:13], v[14:15], off
.LBB8_24:                               ;   in Loop: Header=BB8_14 Depth=3
	s_or_b64 exec, exec, s[46:47]
	v_add_u32_e32 v15, s54, v1
	v_cmp_gt_i32_e32 vcc, s19, v15
	s_and_b64 s[44:45], s[4:5], vcc
	s_and_b64 s[46:47], s[44:45], s[42:43]
	s_and_b64 vcc, exec, s[12:13]
	s_waitcnt vmcnt(0)
	ds_write_b128 v48, v[10:13]
	s_cbranch_vccz .LBB8_28
; %bb.25:                               ;   in Loop: Header=BB8_14 Depth=3
	s_mov_b64 s[48:49], 0
	s_mov_b64 s[44:45], 0
                                        ; implicit-def: $vgpr14
	s_and_saveexec_b64 s[50:51], s[46:47]
	s_xor_b64 s[50:51], exec, s[50:51]
; %bb.26:                               ;   in Loop: Header=BB8_14 Depth=3
	s_mov_b64 s[44:45], exec
	v_add_u32_e32 v14, s53, v53
; %bb.27:                               ;   in Loop: Header=BB8_14 Depth=3
	s_or_b64 exec, exec, s[50:51]
	s_and_b64 vcc, exec, s[48:49]
	s_cbranch_vccnz .LBB8_29
	s_branch .LBB8_32
.LBB8_28:                               ;   in Loop: Header=BB8_14 Depth=3
	s_mov_b64 s[44:45], 0
                                        ; implicit-def: $vgpr14
	s_cbranch_execz .LBB8_32
.LBB8_29:                               ;   in Loop: Header=BB8_14 Depth=3
                                        ; implicit-def: $vgpr14
	s_and_saveexec_b64 s[48:49], s[46:47]
; %bb.30:                               ;   in Loop: Header=BB8_14 Depth=3
	v_add_u32_e32 v14, v15, v51
	s_or_b64 s[44:45], s[44:45], exec
; %bb.31:                               ;   in Loop: Header=BB8_14 Depth=3
	s_or_b64 exec, exec, s[48:49]
.LBB8_32:                               ;   in Loop: Header=BB8_14 Depth=3
	v_mov_b32_e32 v10, 0
	v_mov_b32_e32 v12, 0
	;; [unrolled: 1-line block ×4, first 2 shown]
	s_and_saveexec_b64 s[46:47], s[44:45]
	s_cbranch_execz .LBB8_34
; %bb.33:                               ;   in Loop: Header=BB8_14 Depth=3
	v_ashrrev_i32_e32 v15, 31, v14
	v_lshlrev_b64 v[10:11], 4, v[14:15]
	v_mov_b32_e32 v12, s11
	v_add_co_u32_e32 v10, vcc, s10, v10
	v_addc_co_u32_e32 v11, vcc, v12, v11, vcc
	global_load_dwordx4 v[10:13], v[10:11], off
.LBB8_34:                               ;   in Loop: Header=BB8_14 Depth=3
	s_or_b64 exec, exec, s[46:47]
	v_add_u32_e32 v14, v42, v43
	s_andn2_b64 vcc, exec, s[42:43]
	s_waitcnt vmcnt(0)
	ds_write_b128 v14, v[10:13]
	s_waitcnt lgkmcnt(0)
	s_barrier
	s_cbranch_vccnz .LBB8_13
; %bb.35:                               ;   in Loop: Header=BB8_14 Depth=3
	s_mov_b64 s[44:45], -1
	s_and_b64 vcc, exec, s[20:21]
                                        ; implicit-def: $vgpr22_vgpr23
                                        ; implicit-def: $vgpr24_vgpr25
	s_cbranch_vccz .LBB8_45
; %bb.36:                               ;   in Loop: Header=BB8_14 Depth=3
	s_and_b64 vcc, exec, s[28:29]
                                        ; implicit-def: $vgpr22_vgpr23
                                        ; implicit-def: $vgpr24_vgpr25
	s_cbranch_vccz .LBB8_42
; %bb.37:                               ;   in Loop: Header=BB8_14 Depth=3
	ds_read_b128 v[14:17], v42
	ds_read_b128 v[10:13], v42 offset:512
	ds_read_b128 v[18:21], v42 offset:1024
	s_andn2_b64 vcc, exec, s[30:31]
                                        ; implicit-def: $vgpr22_vgpr23
                                        ; implicit-def: $vgpr24_vgpr25
	s_cbranch_vccnz .LBB8_39
; %bb.38:                               ;   in Loop: Header=BB8_14 Depth=3
	ds_read_b128 v[22:25], v46
	s_mov_b64 s[44:45], 0
	s_waitcnt lgkmcnt(0)
	v_fma_f64 v[26:27], v[14:15], v[22:23], v[38:39]
	v_fma_f64 v[22:23], v[16:17], v[22:23], v[36:37]
	v_fma_f64 v[26:27], -v[16:17], v[24:25], v[26:27]
	v_fma_f64 v[28:29], v[14:15], v[24:25], v[22:23]
	ds_read_b128 v[22:25], v46 offset:16
	s_waitcnt lgkmcnt(0)
	v_fma_f64 v[26:27], v[10:11], v[22:23], v[26:27]
	v_fma_f64 v[22:23], v[12:13], v[22:23], v[28:29]
	v_fma_f64 v[26:27], -v[12:13], v[24:25], v[26:27]
	v_fma_f64 v[28:29], v[10:11], v[24:25], v[22:23]
	ds_read_b128 v[22:25], v46 offset:32
	s_waitcnt lgkmcnt(0)
	v_fma_f64 v[26:27], v[18:19], v[22:23], v[26:27]
	v_fma_f64 v[22:23], v[20:21], v[22:23], v[28:29]
	v_fma_f64 v[54:55], -v[20:21], v[24:25], v[26:27]
	v_fma_f64 v[56:57], v[18:19], v[24:25], v[22:23]
	ds_read_b128 v[22:25], v46 offset:48
	ds_read_b128 v[26:29], v42 offset:1536
	s_waitcnt lgkmcnt(0)
	v_fma_f64 v[54:55], v[26:27], v[22:23], v[54:55]
	v_fma_f64 v[22:23], v[28:29], v[22:23], v[56:57]
	v_fma_f64 v[54:55], -v[28:29], v[24:25], v[54:55]
	v_fma_f64 v[56:57], v[26:27], v[24:25], v[22:23]
	ds_read_b128 v[22:25], v42 offset:2048
	ds_read_b128 v[26:29], v46 offset:64
	s_waitcnt lgkmcnt(0)
	v_fma_f64 v[54:55], v[22:23], v[26:27], v[54:55]
	v_fma_f64 v[26:27], v[24:25], v[26:27], v[56:57]
	v_fma_f64 v[54:55], -v[24:25], v[28:29], v[54:55]
	v_fma_f64 v[56:57], v[22:23], v[28:29], v[26:27]
	ds_read_b128 v[22:25], v42 offset:2560
	;; [unrolled: 7-line block ×28, first 2 shown]
	ds_read_b128 v[54:57], v46 offset:496
	s_waitcnt lgkmcnt(0)
	v_fma_f64 v[28:29], v[22:23], v[54:55], v[28:29]
	v_fma_f64 v[26:27], v[24:25], v[54:55], v[26:27]
	v_fma_f64 v[24:25], -v[24:25], v[56:57], v[28:29]
	v_fma_f64 v[22:23], v[22:23], v[56:57], v[26:27]
.LBB8_39:                               ;   in Loop: Header=BB8_14 Depth=3
	s_andn2_b64 vcc, exec, s[44:45]
	s_cbranch_vccnz .LBB8_41
; %bb.40:                               ;   in Loop: Header=BB8_14 Depth=3
	ds_read_b128 v[22:25], v46
	ds_read_b128 v[26:29], v42 offset:15872
	s_waitcnt lgkmcnt(1)
	v_fma_f64 v[54:55], v[14:15], v[22:23], v[38:39]
	v_fma_f64 v[22:23], -v[16:17], v[22:23], v[36:37]
	v_fma_f64 v[54:55], v[16:17], v[24:25], v[54:55]
	v_fma_f64 v[56:57], v[14:15], v[24:25], v[22:23]
	ds_read_b128 v[14:17], v46 offset:16
	ds_read_b128 v[22:25], v46 offset:32
	s_waitcnt lgkmcnt(1)
	v_fma_f64 v[54:55], v[10:11], v[14:15], v[54:55]
	v_fma_f64 v[14:15], -v[12:13], v[14:15], v[56:57]
	v_fma_f64 v[12:13], v[12:13], v[16:17], v[54:55]
	v_fma_f64 v[10:11], v[10:11], v[16:17], v[14:15]
	s_waitcnt lgkmcnt(0)
	v_fma_f64 v[12:13], v[18:19], v[22:23], v[12:13]
	v_fma_f64 v[10:11], -v[20:21], v[22:23], v[10:11]
	v_fma_f64 v[54:55], v[20:21], v[24:25], v[12:13]
	v_fma_f64 v[56:57], v[18:19], v[24:25], v[10:11]
	ds_read_b128 v[10:13], v46 offset:48
	ds_read_b128 v[14:17], v42 offset:1536
	ds_read_b128 v[18:21], v42 offset:2048
	ds_read_b128 v[22:25], v46 offset:64
	s_waitcnt lgkmcnt(2)
	v_fma_f64 v[54:55], v[14:15], v[10:11], v[54:55]
	v_fma_f64 v[10:11], -v[16:17], v[10:11], v[56:57]
	v_fma_f64 v[16:17], v[16:17], v[12:13], v[54:55]
	v_fma_f64 v[10:11], v[14:15], v[12:13], v[10:11]
	s_waitcnt lgkmcnt(0)
	v_fma_f64 v[12:13], v[18:19], v[22:23], v[16:17]
	v_fma_f64 v[10:11], -v[20:21], v[22:23], v[10:11]
	v_fma_f64 v[54:55], v[20:21], v[24:25], v[12:13]
	v_fma_f64 v[56:57], v[18:19], v[24:25], v[10:11]
	ds_read_b128 v[10:13], v46 offset:80
	ds_read_b128 v[14:17], v42 offset:2560
	;; [unrolled: 14-line block ×14, first 2 shown]
	ds_read_b128 v[18:21], v42 offset:15360
	ds_read_b128 v[22:25], v46 offset:480
	s_waitcnt lgkmcnt(2)
	v_fma_f64 v[54:55], v[14:15], v[10:11], v[54:55]
	v_fma_f64 v[10:11], -v[16:17], v[10:11], v[56:57]
	v_fma_f64 v[16:17], v[16:17], v[12:13], v[54:55]
	v_fma_f64 v[10:11], v[14:15], v[12:13], v[10:11]
	s_waitcnt lgkmcnt(0)
	v_fma_f64 v[12:13], v[18:19], v[22:23], v[16:17]
	v_fma_f64 v[10:11], -v[20:21], v[22:23], v[10:11]
	v_fma_f64 v[14:15], v[20:21], v[24:25], v[12:13]
	v_fma_f64 v[16:17], v[18:19], v[24:25], v[10:11]
	ds_read_b128 v[10:13], v46 offset:496
	s_waitcnt lgkmcnt(0)
	v_fma_f64 v[14:15], v[26:27], v[10:11], v[14:15]
	v_fma_f64 v[10:11], -v[28:29], v[10:11], v[16:17]
	v_fma_f64 v[24:25], v[28:29], v[12:13], v[14:15]
	v_fma_f64 v[22:23], v[26:27], v[12:13], v[10:11]
.LBB8_41:                               ;   in Loop: Header=BB8_14 Depth=3
	s_mov_b64 s[44:45], 0
.LBB8_42:                               ;   in Loop: Header=BB8_14 Depth=3
	s_andn2_b64 vcc, exec, s[44:45]
	s_cbranch_vccnz .LBB8_44
; %bb.43:                               ;   in Loop: Header=BB8_14 Depth=3
	s_waitcnt lgkmcnt(1)
	ds_read_b128 v[10:13], v42
	ds_read_b128 v[14:17], v46
	s_waitcnt lgkmcnt(2)
	ds_read_b128 v[18:21], v46 offset:16
	ds_read_b128 v[22:25], v42 offset:512
	s_waitcnt lgkmcnt(2)
	v_fma_f64 v[26:27], v[10:11], v[14:15], v[38:39]
	v_fma_f64 v[14:15], v[12:13], v[14:15], v[36:37]
	v_fma_f64 v[12:13], v[12:13], v[16:17], v[26:27]
	v_fma_f64 v[10:11], v[10:11], -v[16:17], v[14:15]
	s_waitcnt lgkmcnt(0)
	v_fma_f64 v[12:13], v[22:23], v[18:19], v[12:13]
	v_fma_f64 v[10:11], v[24:25], v[18:19], v[10:11]
	v_fma_f64 v[26:27], v[24:25], v[20:21], v[12:13]
	v_fma_f64 v[28:29], v[22:23], -v[20:21], v[10:11]
	ds_read_b128 v[10:13], v42 offset:1024
	ds_read_b128 v[14:17], v46 offset:32
	ds_read_b128 v[18:21], v46 offset:48
	ds_read_b128 v[22:25], v42 offset:1536
	s_waitcnt lgkmcnt(2)
	v_fma_f64 v[26:27], v[10:11], v[14:15], v[26:27]
	v_fma_f64 v[14:15], v[12:13], v[14:15], v[28:29]
	v_fma_f64 v[12:13], v[12:13], v[16:17], v[26:27]
	v_fma_f64 v[10:11], v[10:11], -v[16:17], v[14:15]
	s_waitcnt lgkmcnt(0)
	v_fma_f64 v[12:13], v[22:23], v[18:19], v[12:13]
	v_fma_f64 v[10:11], v[24:25], v[18:19], v[10:11]
	v_fma_f64 v[26:27], v[24:25], v[20:21], v[12:13]
	v_fma_f64 v[28:29], v[22:23], -v[20:21], v[10:11]
	ds_read_b128 v[10:13], v46 offset:64
	ds_read_b128 v[14:17], v42 offset:2048
	;; [unrolled: 14-line block ×15, first 2 shown]
	ds_read_b128 v[18:21], v42 offset:15872
	ds_read_b128 v[24:27], v46 offset:496
	s_waitcnt lgkmcnt(2)
	v_fma_f64 v[22:23], v[14:15], v[10:11], v[22:23]
	v_fma_f64 v[10:11], v[16:17], v[10:11], v[28:29]
	;; [unrolled: 1-line block ×3, first 2 shown]
	v_fma_f64 v[10:11], v[14:15], -v[12:13], v[10:11]
	s_waitcnt lgkmcnt(0)
	v_fma_f64 v[12:13], v[18:19], v[24:25], v[16:17]
	v_fma_f64 v[10:11], v[20:21], v[24:25], v[10:11]
	;; [unrolled: 1-line block ×3, first 2 shown]
	v_fma_f64 v[22:23], v[18:19], -v[26:27], v[10:11]
.LBB8_44:                               ;   in Loop: Header=BB8_14 Depth=3
	s_mov_b64 s[44:45], 0
.LBB8_45:                               ;   in Loop: Header=BB8_14 Depth=3
	s_andn2_b64 vcc, exec, s[44:45]
	s_cbranch_vccnz .LBB8_12
; %bb.46:                               ;   in Loop: Header=BB8_14 Depth=3
	s_waitcnt lgkmcnt(1)
	ds_read_b128 v[10:13], v42
	ds_read_b128 v[14:17], v46
	s_waitcnt lgkmcnt(2)
	ds_read_b128 v[18:21], v46 offset:16
	ds_read_b128 v[22:25], v42 offset:512
	s_waitcnt lgkmcnt(2)
	v_fma_f64 v[26:27], v[10:11], v[14:15], v[38:39]
	v_fma_f64 v[14:15], -v[12:13], v[14:15], v[36:37]
	v_fma_f64 v[12:13], v[12:13], -v[16:17], v[26:27]
	v_fma_f64 v[10:11], v[10:11], -v[16:17], v[14:15]
	s_waitcnt lgkmcnt(0)
	v_fma_f64 v[12:13], v[22:23], v[18:19], v[12:13]
	v_fma_f64 v[10:11], -v[24:25], v[18:19], v[10:11]
	v_fma_f64 v[26:27], v[24:25], -v[20:21], v[12:13]
	v_fma_f64 v[28:29], v[22:23], -v[20:21], v[10:11]
	ds_read_b128 v[10:13], v42 offset:1024
	ds_read_b128 v[14:17], v46 offset:32
	ds_read_b128 v[18:21], v46 offset:48
	ds_read_b128 v[22:25], v42 offset:1536
	s_waitcnt lgkmcnt(2)
	v_fma_f64 v[26:27], v[10:11], v[14:15], v[26:27]
	v_fma_f64 v[14:15], -v[12:13], v[14:15], v[28:29]
	v_fma_f64 v[12:13], v[12:13], -v[16:17], v[26:27]
	v_fma_f64 v[10:11], v[10:11], -v[16:17], v[14:15]
	s_waitcnt lgkmcnt(0)
	v_fma_f64 v[12:13], v[22:23], v[18:19], v[12:13]
	v_fma_f64 v[10:11], -v[24:25], v[18:19], v[10:11]
	v_fma_f64 v[26:27], v[24:25], -v[20:21], v[12:13]
	v_fma_f64 v[28:29], v[22:23], -v[20:21], v[10:11]
	ds_read_b128 v[10:13], v46 offset:64
	ds_read_b128 v[14:17], v42 offset:2048
	;; [unrolled: 14-line block ×15, first 2 shown]
	ds_read_b128 v[18:21], v42 offset:15872
	ds_read_b128 v[24:27], v46 offset:496
	s_waitcnt lgkmcnt(2)
	v_fma_f64 v[22:23], v[14:15], v[10:11], v[22:23]
	v_fma_f64 v[10:11], -v[16:17], v[10:11], v[28:29]
	v_fma_f64 v[16:17], v[16:17], -v[12:13], v[22:23]
	v_fma_f64 v[10:11], v[14:15], -v[12:13], v[10:11]
	s_waitcnt lgkmcnt(0)
	v_fma_f64 v[12:13], v[18:19], v[24:25], v[16:17]
	v_fma_f64 v[10:11], -v[20:21], v[24:25], v[10:11]
	v_fma_f64 v[24:25], v[20:21], -v[26:27], v[12:13]
	v_fma_f64 v[22:23], v[18:19], -v[26:27], v[10:11]
	s_branch .LBB8_12
.LBB8_47:                               ;   in Loop: Header=BB8_8 Depth=1
	v_mov_b32_e32 v38, 0
	v_mov_b32_e32 v39, 0
.LBB8_48:                               ;   in Loop: Header=BB8_8 Depth=1
	v_add_u32_e32 v10, s7, v49
	v_ashrrev_i32_e32 v11, 31, v10
	s_mov_b64 s[4:5], -1
	s_and_b64 vcc, exec, s[34:35]
                                        ; implicit-def: $vgpr14_vgpr15
	s_cbranch_vccnz .LBB8_51
; %bb.49:                               ;   in Loop: Header=BB8_8 Depth=1
	s_andn2_b64 vcc, exec, s[4:5]
	s_cbranch_vccz .LBB8_52
.LBB8_50:                               ;   in Loop: Header=BB8_8 Depth=1
	v_cmp_gt_i32_e32 vcc, s19, v49
	s_and_b64 s[42:43], s[36:37], vcc
	s_and_saveexec_b64 s[4:5], s[42:43]
	s_cbranch_execz .LBB8_7
	s_branch .LBB8_53
.LBB8_51:                               ;   in Loop: Header=BB8_8 Depth=1
	v_mad_u64_u32 v[14:15], s[4:5], s26, v10, v[30:31]
	v_mul_lo_u32 v12, s26, v11
	v_mul_lo_u32 v13, s27, v10
	v_add3_u32 v15, v13, v15, v12
	s_cbranch_execnz .LBB8_50
.LBB8_52:                               ;   in Loop: Header=BB8_8 Depth=1
	v_add_co_u32_e32 v14, vcc, v32, v10
	v_addc_co_u32_e32 v15, vcc, v33, v11, vcc
	v_cmp_gt_i32_e32 vcc, s19, v49
	s_and_b64 s[42:43], s[36:37], vcc
	s_and_saveexec_b64 s[4:5], s[42:43]
	s_cbranch_execz .LBB8_7
.LBB8_53:                               ;   in Loop: Header=BB8_8 Depth=1
	v_mul_f64 v[10:11], v[36:37], -v[4:5]
	v_mul_f64 v[12:13], v[2:3], v[36:37]
	v_lshlrev_b64 v[14:15], 4, v[14:15]
	v_fma_f64 v[10:11], v[2:3], v[38:39], v[10:11]
	v_fma_f64 v[12:13], v[4:5], v[38:39], v[12:13]
	s_and_saveexec_b64 s[42:43], s[38:39]
	s_xor_b64 s[42:43], exec, s[42:43]
	s_cbranch_execz .LBB8_55
; %bb.54:                               ;   in Loop: Header=BB8_8 Depth=1
	v_mov_b32_e32 v16, s25
	v_add_co_u32_e32 v18, vcc, s24, v14
	v_addc_co_u32_e32 v19, vcc, v16, v15, vcc
	global_load_dwordx4 v[14:17], v[18:19], off
	s_waitcnt vmcnt(0)
	v_fma_f64 v[10:11], v[6:7], v[14:15], v[10:11]
	v_fma_f64 v[12:13], v[8:9], v[14:15], v[12:13]
                                        ; implicit-def: $vgpr14_vgpr15
	v_fma_f64 v[10:11], -v[8:9], v[16:17], v[10:11]
	v_fma_f64 v[12:13], v[6:7], v[16:17], v[12:13]
	global_store_dwordx4 v[18:19], v[10:13], off
                                        ; implicit-def: $vgpr10_vgpr11
.LBB8_55:                               ;   in Loop: Header=BB8_8 Depth=1
	s_andn2_saveexec_b64 s[42:43], s[42:43]
	s_cbranch_execz .LBB8_7
; %bb.56:                               ;   in Loop: Header=BB8_8 Depth=1
	v_mov_b32_e32 v16, s25
	v_add_co_u32_e32 v14, vcc, s24, v14
	v_addc_co_u32_e32 v15, vcc, v16, v15, vcc
	global_store_dwordx4 v[14:15], v[10:13], off
	s_branch .LBB8_7
.LBB8_57:
	s_endpgm
	.section	.rodata,"a",@progbits
	.p2align	6, 0x0
	.amdhsa_kernel _ZN9rocsparseL30bellmm_general_blockdim_kernelILi32ELi32E21rocsparse_complex_numIdEiS2_S2_S2_EEv20rocsparse_operation_S3_20rocsparse_direction_T2_S5_NS_24const_host_device_scalarIT1_EES5_S5_PKS5_PKT3_PKT4_l16rocsparse_order_S8_PT5_lSH_21rocsparse_index_base_b
		.amdhsa_group_segment_fixed_size 32768
		.amdhsa_private_segment_fixed_size 0
		.amdhsa_kernarg_size 132
		.amdhsa_user_sgpr_count 6
		.amdhsa_user_sgpr_private_segment_buffer 1
		.amdhsa_user_sgpr_dispatch_ptr 0
		.amdhsa_user_sgpr_queue_ptr 0
		.amdhsa_user_sgpr_kernarg_segment_ptr 1
		.amdhsa_user_sgpr_dispatch_id 0
		.amdhsa_user_sgpr_flat_scratch_init 0
		.amdhsa_user_sgpr_private_segment_size 0
		.amdhsa_uses_dynamic_stack 0
		.amdhsa_system_sgpr_private_segment_wavefront_offset 0
		.amdhsa_system_sgpr_workgroup_id_x 1
		.amdhsa_system_sgpr_workgroup_id_y 1
		.amdhsa_system_sgpr_workgroup_id_z 0
		.amdhsa_system_sgpr_workgroup_info 0
		.amdhsa_system_vgpr_workitem_id 1
		.amdhsa_next_free_vgpr 60
		.amdhsa_next_free_sgpr 61
		.amdhsa_reserve_vcc 1
		.amdhsa_reserve_flat_scratch 0
		.amdhsa_float_round_mode_32 0
		.amdhsa_float_round_mode_16_64 0
		.amdhsa_float_denorm_mode_32 3
		.amdhsa_float_denorm_mode_16_64 3
		.amdhsa_dx10_clamp 1
		.amdhsa_ieee_mode 1
		.amdhsa_fp16_overflow 0
		.amdhsa_exception_fp_ieee_invalid_op 0
		.amdhsa_exception_fp_denorm_src 0
		.amdhsa_exception_fp_ieee_div_zero 0
		.amdhsa_exception_fp_ieee_overflow 0
		.amdhsa_exception_fp_ieee_underflow 0
		.amdhsa_exception_fp_ieee_inexact 0
		.amdhsa_exception_int_div_zero 0
	.end_amdhsa_kernel
	.section	.text._ZN9rocsparseL30bellmm_general_blockdim_kernelILi32ELi32E21rocsparse_complex_numIdEiS2_S2_S2_EEv20rocsparse_operation_S3_20rocsparse_direction_T2_S5_NS_24const_host_device_scalarIT1_EES5_S5_PKS5_PKT3_PKT4_l16rocsparse_order_S8_PT5_lSH_21rocsparse_index_base_b,"axG",@progbits,_ZN9rocsparseL30bellmm_general_blockdim_kernelILi32ELi32E21rocsparse_complex_numIdEiS2_S2_S2_EEv20rocsparse_operation_S3_20rocsparse_direction_T2_S5_NS_24const_host_device_scalarIT1_EES5_S5_PKS5_PKT3_PKT4_l16rocsparse_order_S8_PT5_lSH_21rocsparse_index_base_b,comdat
.Lfunc_end8:
	.size	_ZN9rocsparseL30bellmm_general_blockdim_kernelILi32ELi32E21rocsparse_complex_numIdEiS2_S2_S2_EEv20rocsparse_operation_S3_20rocsparse_direction_T2_S5_NS_24const_host_device_scalarIT1_EES5_S5_PKS5_PKT3_PKT4_l16rocsparse_order_S8_PT5_lSH_21rocsparse_index_base_b, .Lfunc_end8-_ZN9rocsparseL30bellmm_general_blockdim_kernelILi32ELi32E21rocsparse_complex_numIdEiS2_S2_S2_EEv20rocsparse_operation_S3_20rocsparse_direction_T2_S5_NS_24const_host_device_scalarIT1_EES5_S5_PKS5_PKT3_PKT4_l16rocsparse_order_S8_PT5_lSH_21rocsparse_index_base_b
                                        ; -- End function
	.set _ZN9rocsparseL30bellmm_general_blockdim_kernelILi32ELi32E21rocsparse_complex_numIdEiS2_S2_S2_EEv20rocsparse_operation_S3_20rocsparse_direction_T2_S5_NS_24const_host_device_scalarIT1_EES5_S5_PKS5_PKT3_PKT4_l16rocsparse_order_S8_PT5_lSH_21rocsparse_index_base_b.num_vgpr, 60
	.set _ZN9rocsparseL30bellmm_general_blockdim_kernelILi32ELi32E21rocsparse_complex_numIdEiS2_S2_S2_EEv20rocsparse_operation_S3_20rocsparse_direction_T2_S5_NS_24const_host_device_scalarIT1_EES5_S5_PKS5_PKT3_PKT4_l16rocsparse_order_S8_PT5_lSH_21rocsparse_index_base_b.num_agpr, 0
	.set _ZN9rocsparseL30bellmm_general_blockdim_kernelILi32ELi32E21rocsparse_complex_numIdEiS2_S2_S2_EEv20rocsparse_operation_S3_20rocsparse_direction_T2_S5_NS_24const_host_device_scalarIT1_EES5_S5_PKS5_PKT3_PKT4_l16rocsparse_order_S8_PT5_lSH_21rocsparse_index_base_b.numbered_sgpr, 58
	.set _ZN9rocsparseL30bellmm_general_blockdim_kernelILi32ELi32E21rocsparse_complex_numIdEiS2_S2_S2_EEv20rocsparse_operation_S3_20rocsparse_direction_T2_S5_NS_24const_host_device_scalarIT1_EES5_S5_PKS5_PKT3_PKT4_l16rocsparse_order_S8_PT5_lSH_21rocsparse_index_base_b.num_named_barrier, 0
	.set _ZN9rocsparseL30bellmm_general_blockdim_kernelILi32ELi32E21rocsparse_complex_numIdEiS2_S2_S2_EEv20rocsparse_operation_S3_20rocsparse_direction_T2_S5_NS_24const_host_device_scalarIT1_EES5_S5_PKS5_PKT3_PKT4_l16rocsparse_order_S8_PT5_lSH_21rocsparse_index_base_b.private_seg_size, 0
	.set _ZN9rocsparseL30bellmm_general_blockdim_kernelILi32ELi32E21rocsparse_complex_numIdEiS2_S2_S2_EEv20rocsparse_operation_S3_20rocsparse_direction_T2_S5_NS_24const_host_device_scalarIT1_EES5_S5_PKS5_PKT3_PKT4_l16rocsparse_order_S8_PT5_lSH_21rocsparse_index_base_b.uses_vcc, 1
	.set _ZN9rocsparseL30bellmm_general_blockdim_kernelILi32ELi32E21rocsparse_complex_numIdEiS2_S2_S2_EEv20rocsparse_operation_S3_20rocsparse_direction_T2_S5_NS_24const_host_device_scalarIT1_EES5_S5_PKS5_PKT3_PKT4_l16rocsparse_order_S8_PT5_lSH_21rocsparse_index_base_b.uses_flat_scratch, 0
	.set _ZN9rocsparseL30bellmm_general_blockdim_kernelILi32ELi32E21rocsparse_complex_numIdEiS2_S2_S2_EEv20rocsparse_operation_S3_20rocsparse_direction_T2_S5_NS_24const_host_device_scalarIT1_EES5_S5_PKS5_PKT3_PKT4_l16rocsparse_order_S8_PT5_lSH_21rocsparse_index_base_b.has_dyn_sized_stack, 0
	.set _ZN9rocsparseL30bellmm_general_blockdim_kernelILi32ELi32E21rocsparse_complex_numIdEiS2_S2_S2_EEv20rocsparse_operation_S3_20rocsparse_direction_T2_S5_NS_24const_host_device_scalarIT1_EES5_S5_PKS5_PKT3_PKT4_l16rocsparse_order_S8_PT5_lSH_21rocsparse_index_base_b.has_recursion, 0
	.set _ZN9rocsparseL30bellmm_general_blockdim_kernelILi32ELi32E21rocsparse_complex_numIdEiS2_S2_S2_EEv20rocsparse_operation_S3_20rocsparse_direction_T2_S5_NS_24const_host_device_scalarIT1_EES5_S5_PKS5_PKT3_PKT4_l16rocsparse_order_S8_PT5_lSH_21rocsparse_index_base_b.has_indirect_call, 0
	.section	.AMDGPU.csdata,"",@progbits
; Kernel info:
; codeLenInByte = 8248
; TotalNumSgprs: 62
; NumVgprs: 60
; ScratchSize: 0
; MemoryBound: 1
; FloatMode: 240
; IeeeMode: 1
; LDSByteSize: 32768 bytes/workgroup (compile time only)
; SGPRBlocks: 8
; VGPRBlocks: 14
; NumSGPRsForWavesPerEU: 65
; NumVGPRsForWavesPerEU: 60
; Occupancy: 4
; WaveLimiterHint : 0
; COMPUTE_PGM_RSRC2:SCRATCH_EN: 0
; COMPUTE_PGM_RSRC2:USER_SGPR: 6
; COMPUTE_PGM_RSRC2:TRAP_HANDLER: 0
; COMPUTE_PGM_RSRC2:TGID_X_EN: 1
; COMPUTE_PGM_RSRC2:TGID_Y_EN: 1
; COMPUTE_PGM_RSRC2:TGID_Z_EN: 0
; COMPUTE_PGM_RSRC2:TIDIG_COMP_CNT: 1
	.section	.text._ZN9rocsparseL30bellmm_general_blockdim_kernelILi32ELi32E21rocsparse_complex_numIdElS2_S2_S2_EEv20rocsparse_operation_S3_20rocsparse_direction_T2_S5_NS_24const_host_device_scalarIT1_EES5_S5_PKS5_PKT3_PKT4_l16rocsparse_order_S8_PT5_lSH_21rocsparse_index_base_b,"axG",@progbits,_ZN9rocsparseL30bellmm_general_blockdim_kernelILi32ELi32E21rocsparse_complex_numIdElS2_S2_S2_EEv20rocsparse_operation_S3_20rocsparse_direction_T2_S5_NS_24const_host_device_scalarIT1_EES5_S5_PKS5_PKT3_PKT4_l16rocsparse_order_S8_PT5_lSH_21rocsparse_index_base_b,comdat
	.globl	_ZN9rocsparseL30bellmm_general_blockdim_kernelILi32ELi32E21rocsparse_complex_numIdElS2_S2_S2_EEv20rocsparse_operation_S3_20rocsparse_direction_T2_S5_NS_24const_host_device_scalarIT1_EES5_S5_PKS5_PKT3_PKT4_l16rocsparse_order_S8_PT5_lSH_21rocsparse_index_base_b ; -- Begin function _ZN9rocsparseL30bellmm_general_blockdim_kernelILi32ELi32E21rocsparse_complex_numIdElS2_S2_S2_EEv20rocsparse_operation_S3_20rocsparse_direction_T2_S5_NS_24const_host_device_scalarIT1_EES5_S5_PKS5_PKT3_PKT4_l16rocsparse_order_S8_PT5_lSH_21rocsparse_index_base_b
	.p2align	8
	.type	_ZN9rocsparseL30bellmm_general_blockdim_kernelILi32ELi32E21rocsparse_complex_numIdElS2_S2_S2_EEv20rocsparse_operation_S3_20rocsparse_direction_T2_S5_NS_24const_host_device_scalarIT1_EES5_S5_PKS5_PKT3_PKT4_l16rocsparse_order_S8_PT5_lSH_21rocsparse_index_base_b,@function
_ZN9rocsparseL30bellmm_general_blockdim_kernelILi32ELi32E21rocsparse_complex_numIdElS2_S2_S2_EEv20rocsparse_operation_S3_20rocsparse_direction_T2_S5_NS_24const_host_device_scalarIT1_EES5_S5_PKS5_PKT3_PKT4_l16rocsparse_order_S8_PT5_lSH_21rocsparse_index_base_b: ; @_ZN9rocsparseL30bellmm_general_blockdim_kernelILi32ELi32E21rocsparse_complex_numIdElS2_S2_S2_EEv20rocsparse_operation_S3_20rocsparse_direction_T2_S5_NS_24const_host_device_scalarIT1_EES5_S5_PKS5_PKT3_PKT4_l16rocsparse_order_S8_PT5_lSH_21rocsparse_index_base_b
; %bb.0:
	s_mov_b64 s[74:75], s[2:3]
	s_mov_b64 s[72:73], s[0:1]
	s_add_u32 s72, s72, s8
	s_addc_u32 s73, s73, 0
	s_load_dwordx2 s[2:3], s[4:5], 0x20
	s_load_dwordx4 s[28:31], s[4:5], 0x88
	s_add_u32 s1, s4, 32
	s_mov_b32 s0, s7
	s_addc_u32 s7, s5, 0
	s_add_u32 s10, s4, 0x68
	s_addc_u32 s11, s5, 0
	s_waitcnt lgkmcnt(0)
	s_bitcmp1_b32 s30, 0
	s_cselect_b32 s3, s7, s3
	s_cselect_b32 s1, s1, s2
	v_mov_b32_e32 v2, s1
	v_mov_b32_e32 v3, s3
	flat_load_dwordx4 v[2:5], v[2:3]
	s_load_dwordx2 s[8:9], s[4:5], 0x68
	s_waitcnt lgkmcnt(0)
	s_cselect_b32 s1, s11, s9
	s_cselect_b32 s2, s10, s8
	v_mov_b32_e32 v6, s2
	v_mov_b32_e32 v7, s1
	flat_load_dwordx4 v[6:9], v[6:7]
	s_waitcnt vmcnt(0)
	v_cmp_eq_f64_e32 vcc, 0, v[2:3]
	v_cmp_eq_f64_e64 s[2:3], 0, v[4:5]
	s_and_b64 s[10:11], vcc, s[2:3]
	s_mov_b64 s[2:3], -1
	s_and_saveexec_b64 s[8:9], s[10:11]
	s_cbranch_execz .LBB9_2
; %bb.1:
	s_waitcnt lgkmcnt(0)
	v_cmp_neq_f64_e32 vcc, 1.0, v[6:7]
	v_cmp_neq_f64_e64 s[2:3], 0, v[8:9]
	s_or_b64 s[2:3], vcc, s[2:3]
	s_orn2_b64 s[2:3], s[2:3], exec
.LBB9_2:
	s_or_b64 exec, exec, s[8:9]
	s_and_saveexec_b64 s[8:9], s[2:3]
	s_cbranch_execz .LBB9_55
; %bb.3:
	s_load_dwordx4 s[20:23], s[4:5], 0x10
	s_load_dwordx4 s[8:11], s[4:5], 0x30
	s_mov_b32 s7, 0
	v_mov_b32_e32 v11, s7
	v_mov_b32_e32 v10, s6
	s_waitcnt lgkmcnt(0)
	v_cmp_le_i64_e32 vcc, s[20:21], v[10:11]
	v_cmp_gt_i64_e64 s[2:3], s[20:21], v[10:11]
	s_mov_b64 s[30:31], 0
	s_cbranch_vccnz .LBB9_7
; %bb.4:
	s_or_b64 s[12:13], s[8:9], s[10:11]
	s_mov_b32 s12, s7
	s_cmp_lg_u64 s[12:13], 0
	s_cbranch_scc0 .LBB9_56
; %bb.5:
	s_ashr_i32 s12, s11, 31
	s_add_u32 s14, s10, s12
	s_mov_b32 s13, s12
	s_addc_u32 s15, s11, s12
	s_xor_b64 s[16:17], s[14:15], s[12:13]
	v_cvt_f32_u32_e32 v10, s16
	v_cvt_f32_u32_e32 v11, s17
	s_sub_u32 s1, 0, s16
	s_subb_u32 s7, 0, s17
	v_madmk_f32 v10, v11, 0x4f800000, v10
	v_rcp_f32_e32 v10, v10
	v_mul_f32_e32 v10, 0x5f7ffffc, v10
	v_mul_f32_e32 v11, 0x2f800000, v10
	v_trunc_f32_e32 v11, v11
	v_madmk_f32 v10, v11, 0xcf800000, v10
	v_cvt_u32_f32_e32 v11, v11
	v_cvt_u32_f32_e32 v10, v10
	v_readfirstlane_b32 s24, v11
	v_readfirstlane_b32 s18, v10
	s_mul_i32 s19, s1, s24
	s_mul_hi_u32 s26, s1, s18
	s_mul_i32 s25, s7, s18
	s_add_i32 s19, s26, s19
	s_add_i32 s19, s19, s25
	s_mul_i32 s27, s1, s18
	s_mul_i32 s26, s18, s19
	s_mul_hi_u32 s30, s18, s27
	s_mul_hi_u32 s25, s18, s19
	s_add_u32 s26, s30, s26
	s_addc_u32 s25, 0, s25
	s_mul_hi_u32 s31, s24, s27
	s_mul_i32 s27, s24, s27
	s_add_u32 s26, s26, s27
	s_mul_hi_u32 s30, s24, s19
	s_addc_u32 s25, s25, s31
	s_addc_u32 s26, s30, 0
	s_mul_i32 s19, s24, s19
	s_add_u32 s19, s25, s19
	s_addc_u32 s25, 0, s26
	s_add_u32 s26, s18, s19
	s_cselect_b64 s[18:19], -1, 0
	s_cmp_lg_u64 s[18:19], 0
	s_addc_u32 s24, s24, s25
	s_mul_i32 s18, s1, s24
	s_mul_hi_u32 s19, s1, s26
	s_add_i32 s18, s19, s18
	s_mul_i32 s7, s7, s26
	s_add_i32 s18, s18, s7
	s_mul_i32 s1, s1, s26
	s_mul_hi_u32 s19, s24, s1
	s_mul_i32 s25, s24, s1
	s_mul_i32 s30, s26, s18
	s_mul_hi_u32 s1, s26, s1
	s_mul_hi_u32 s27, s26, s18
	s_add_u32 s1, s1, s30
	s_addc_u32 s27, 0, s27
	s_add_u32 s1, s1, s25
	s_mul_hi_u32 s7, s24, s18
	s_addc_u32 s1, s27, s19
	s_addc_u32 s7, s7, 0
	s_mul_i32 s18, s24, s18
	s_add_u32 s1, s1, s18
	s_addc_u32 s7, 0, s7
	s_add_u32 s1, s26, s1
	s_cselect_b64 s[18:19], -1, 0
	s_cmp_lg_u64 s[18:19], 0
	s_addc_u32 s7, s24, s7
	s_ashr_i32 s18, s9, 31
	s_add_u32 s24, s8, s18
	s_mov_b32 s19, s18
	s_addc_u32 s25, s9, s18
	s_xor_b64 s[24:25], s[24:25], s[18:19]
	s_mul_i32 s26, s24, s7
	s_mul_hi_u32 s27, s24, s1
	s_mul_hi_u32 s9, s24, s7
	s_add_u32 s26, s27, s26
	s_addc_u32 s9, 0, s9
	s_mul_hi_u32 s30, s25, s1
	s_mul_i32 s1, s25, s1
	s_add_u32 s1, s26, s1
	s_mul_hi_u32 s27, s25, s7
	s_addc_u32 s1, s9, s30
	s_addc_u32 s9, s27, 0
	s_mul_i32 s7, s25, s7
	s_add_u32 s1, s1, s7
	s_addc_u32 s7, 0, s9
	s_mul_i32 s9, s16, s7
	s_mul_hi_u32 s26, s16, s1
	s_add_i32 s9, s26, s9
	s_mul_i32 s26, s17, s1
	s_add_i32 s9, s9, s26
	s_sub_i32 s30, s25, s9
	s_mul_i32 s26, s16, s1
	s_sub_u32 s24, s24, s26
	s_cselect_b64 s[26:27], -1, 0
	s_cmp_lg_u64 s[26:27], 0
	s_subb_u32 s33, s30, s17
	s_sub_u32 s34, s24, s16
	s_cselect_b64 s[30:31], -1, 0
	s_cmp_lg_u64 s[30:31], 0
	s_subb_u32 s30, s33, 0
	s_cmp_ge_u32 s30, s17
	s_cselect_b32 s31, -1, 0
	s_cmp_ge_u32 s34, s16
	s_cselect_b32 s33, -1, 0
	s_cmp_eq_u32 s30, s17
	s_cselect_b32 s30, s33, s31
	s_add_u32 s31, s1, 1
	s_addc_u32 s33, s7, 0
	s_add_u32 s34, s1, 2
	s_addc_u32 s35, s7, 0
	s_cmp_lg_u32 s30, 0
	s_cselect_b32 s30, s34, s31
	s_cselect_b32 s31, s35, s33
	s_cmp_lg_u64 s[26:27], 0
	s_subb_u32 s9, s25, s9
	s_cmp_ge_u32 s9, s17
	s_cselect_b32 s25, -1, 0
	s_cmp_ge_u32 s24, s16
	s_cselect_b32 s16, -1, 0
	s_cmp_eq_u32 s9, s17
	s_cselect_b32 s9, s16, s25
	s_cmp_lg_u32 s9, 0
	s_cselect_b32 s17, s31, s7
	s_cselect_b32 s16, s30, s1
	s_xor_b64 s[12:13], s[18:19], s[12:13]
	s_xor_b64 s[16:17], s[16:17], s[12:13]
	s_sub_u32 s30, s16, s12
	s_subb_u32 s31, s17, s13
	s_cbranch_execnz .LBB9_7
.LBB9_6:
	v_cvt_f32_u32_e32 v10, s10
	s_sub_i32 s1, 0, s10
	s_mov_b32 s31, 0
	v_rcp_iflag_f32_e32 v10, v10
	v_mul_f32_e32 v10, 0x4f7ffffe, v10
	v_cvt_u32_f32_e32 v10, v10
	v_readfirstlane_b32 s7, v10
	s_mul_i32 s1, s1, s7
	s_mul_hi_u32 s1, s7, s1
	s_add_i32 s7, s7, s1
	s_mul_hi_u32 s1, s8, s7
	s_mul_i32 s9, s1, s10
	s_sub_i32 s8, s8, s9
	s_add_i32 s7, s1, 1
	s_sub_i32 s9, s8, s10
	s_cmp_ge_u32 s8, s10
	s_cselect_b32 s1, s7, s1
	s_cselect_b32 s8, s9, s8
	s_add_i32 s7, s1, 1
	s_cmp_ge_u32 s8, s10
	s_cselect_b32 s30, s7, s1
.LBB9_7:
	v_cmp_lt_i64_e64 s[8:9], s[10:11], 1
	s_and_b64 vcc, exec, s[8:9]
	s_cbranch_vccnz .LBB9_55
; %bb.8:
	s_lshl_b32 s0, s0, 5
	v_add_co_u32_e32 v61, vcc, s0, v1
	v_addc_co_u32_e64 v62, s[0:1], 0, 0, vcc
	s_load_dwordx4 s[40:43], s[4:5], 0x0
	s_load_dwordx4 s[24:27], s[4:5], 0x78
	s_load_dword s38, s[4:5], 0x60
	s_mul_i32 s0, s11, s6
	s_mul_hi_u32 s1, s10, s6
	s_add_i32 s35, s1, s0
	s_mul_i32 s0, s10, s11
	s_mul_hi_u32 s1, s10, s10
	s_add_i32 s1, s1, s0
	s_add_i32 s7, s1, s0
	s_waitcnt lgkmcnt(0)
	s_cmpk_eq_i32 s41, 0x6f
	s_load_dwordx8 s[12:19], s[4:5], 0x40
	s_cselect_b64 s[8:9], -1, 0
	s_cmp_lg_u32 s38, 1
	s_cselect_b64 s[48:49], -1, 0
	s_cmp_lg_u32 s42, 0
	v_cmp_gt_i64_e64 s[0:1], s[22:23], v[61:62]
	s_cselect_b64 s[22:23], -1, 0
	s_cmpk_eq_i32 s41, 0x71
	v_lshlrev_b64 v[12:13], 4, v[61:62]
	s_cselect_b64 s[4:5], -1, 0
	s_cmpk_lg_i32 s41, 0x71
	s_cselect_b64 s[38:39], -1, 0
	s_cmpk_lg_i32 s40, 0x71
	s_waitcnt lgkmcnt(0)
	v_mov_b32_e32 v10, s17
	v_add_co_u32_e32 v51, vcc, s16, v12
	s_cselect_b64 s[42:43], -1, 0
	v_addc_co_u32_e32 v52, vcc, v10, v13, vcc
	s_or_b64 s[38:39], s[42:43], s[38:39]
	s_and_b64 s[40:41], s[42:43], s[4:5]
	s_or_b64 s[42:43], s[42:43], s[4:5]
	v_mul_lo_u32 v10, s27, v61
	v_mul_lo_u32 v12, s26, v62
	v_mad_u64_u32 v[15:16], s[4:5], s26, v61, 0
	s_xor_b64 s[40:41], s[40:41], -1
	s_cmp_lg_u32 s28, 1
	v_add3_u32 v16, v16, v12, v10
	v_cmp_neq_f64_e32 vcc, 0, v[6:7]
	v_cmp_neq_f64_e64 s[4:5], 0, v[8:9]
	buffer_store_dword v15, off, s[72:75], 0 ; 4-byte Folded Spill
	s_nop 0
	buffer_store_dword v16, off, s[72:75], 0 offset:4 ; 4-byte Folded Spill
	s_mov_b32 s66, s29
	s_cselect_b64 s[28:29], -1, 0
	s_and_b64 s[44:45], s[2:3], s[0:1]
	v_mul_lo_u32 v10, s19, v61
	v_mul_lo_u32 v15, s18, v62
	v_mad_u64_u32 v[12:13], s[2:3], s18, v61, 0
	v_lshlrev_b32_e32 v50, 4, v0
	s_mul_i32 s34, s10, s6
	v_add3_u32 v13, v13, v15, v10
	v_lshlrev_b64 v[12:13], 4, v[12:13]
	s_or_b64 s[46:47], vcc, s[4:5]
	s_xor_b64 s[2:3], s[8:9], s[48:49]
	v_add_co_u32_e32 v12, vcc, v12, v50
	s_xor_b64 s[48:49], s[2:3], -1
	v_addc_co_u32_e32 v13, vcc, 0, v13, vcc
	s_lshl_b64 s[2:3], s[34:35], 4
	v_mov_b32_e32 v10, s3
	v_add_co_u32_e32 v16, vcc, s2, v50
	v_mov_b32_e32 v11, 0
	v_addc_co_u32_e32 v17, vcc, 0, v10, vcc
	v_lshlrev_b32_e32 v10, 4, v1
	s_mul_i32 s33, s10, s10
	v_mad_u64_u32 v[10:11], s[2:3], s10, v16, v[10:11]
	s_mul_i32 s2, s33, s21
	s_mul_hi_u32 s3, s33, s20
	v_mul_lo_u32 v17, s10, v17
	v_mul_lo_u32 v18, s11, v16
	s_add_i32 s2, s3, s2
	s_mul_i32 s3, s7, s20
	s_add_i32 s3, s2, s3
	s_mul_i32 s2, s33, s20
	v_mov_b32_e32 v15, s17
	v_add_co_u32_e32 v30, vcc, s16, v12
	s_lshl_b64 s[52:53], s[2:3], 4
	v_cmp_gt_i64_e64 s[2:3], s[30:31], 0
	v_addc_co_u32_e32 v31, vcc, v15, v13, vcc
	v_or_b32_e32 v14, 0x4000, v50
	v_lshlrev_b32_e32 v53, 9, v1
	v_add3_u32 v11, v18, v11, v17
	v_mov_b32_e32 v55, s15
	v_add_co_u32_e32 v32, vcc, s14, v10
	v_cndmask_b32_e64 v10, 0, 1, s[2:3]
	s_mov_b64 s[36:37], 0
	v_add_u32_e32 v54, 0x4000, v53
	s_lshl_b64 s[16:17], s[10:11], 4
	v_addc_co_u32_e32 v33, vcc, v55, v11, vcc
	s_lshl_b64 s[50:51], s[10:11], 9
	v_add_u32_e32 v56, v14, v53
	v_cmp_ne_u32_e64 s[2:3], 1, v10
	s_branch .LBB9_10
.LBB9_9:                                ;   in Loop: Header=BB9_10 Depth=1
	s_or_b64 exec, exec, s[4:5]
	s_add_u32 s36, s36, 32
	v_mov_b32_e32 v10, s10
	s_addc_u32 s37, s37, 0
	v_mov_b32_e32 v11, s11
	v_cmp_lt_i64_e32 vcc, s[36:37], v[10:11]
	v_mov_b32_e32 v12, s51
	v_add_co_u32_e64 v32, s[4:5], s50, v32
	v_addc_co_u32_e64 v33, s[4:5], v33, v12, s[4:5]
	s_cbranch_vccz .LBB9_55
.LBB9_10:                               ; =>This Loop Header: Depth=1
                                        ;     Child Loop BB9_13 Depth 2
                                        ;       Child Loop BB9_16 Depth 3
	v_mov_b32_e32 v10, s37
	v_add_co_u32_e32 v34, vcc, s36, v0
	v_addc_co_u32_e32 v35, vcc, 0, v10, vcc
	v_cmp_gt_i64_e64 s[4:5], s[10:11], v[34:35]
	s_and_b64 vcc, exec, s[2:3]
	s_cbranch_vccnz .LBB9_45
; %bb.11:                               ;   in Loop: Header=BB9_10 Depth=1
	v_lshlrev_b64 v[10:11], 4, v[34:35]
	v_mov_b32_e32 v42, 0
	v_add_co_u32_e32 v57, vcc, s14, v10
	v_mov_b32_e32 v44, 0
	v_mov_b32_e32 v37, v33
	v_addc_co_u32_e32 v58, vcc, v55, v11, vcc
	v_mov_b32_e32 v43, 0
	s_mov_b64 s[54:55], 0
	v_mov_b32_e32 v45, 0
	v_mov_b32_e32 v36, v32
	s_branch .LBB9_13
.LBB9_12:                               ;   in Loop: Header=BB9_13 Depth=2
	s_add_u32 s54, s54, 1
	s_addc_u32 s55, s55, 0
	v_mov_b32_e32 v10, s53
	v_add_co_u32_e32 v36, vcc, s52, v36
	s_cmp_eq_u64 s[54:55], s[30:31]
	v_addc_co_u32_e32 v37, vcc, v37, v10, vcc
	s_cbranch_scc1 .LBB9_46
.LBB9_13:                               ;   Parent Loop BB9_10 Depth=1
                                        ; =>  This Loop Header: Depth=2
                                        ;       Child Loop BB9_16 Depth 3
	s_mul_i32 s8, s54, s21
	s_mul_hi_u32 s9, s54, s20
	s_add_i32 s8, s9, s8
	s_mul_i32 s9, s55, s20
	s_add_i32 s9, s8, s9
	s_mul_i32 s8, s54, s20
	s_add_u32 s8, s8, s6
	s_addc_u32 s9, s9, 0
	s_mul_i32 s15, s33, s9
	s_mul_hi_u32 s56, s33, s8
	s_add_i32 s15, s56, s15
	s_mul_i32 s56, s7, s8
	s_add_i32 s59, s15, s56
	s_lshl_b64 s[56:57], s[8:9], 3
	s_add_u32 s56, s12, s56
	s_addc_u32 s57, s13, s57
	s_load_dwordx2 s[56:57], s[56:57], 0x0
	s_mul_i32 s58, s33, s8
	v_mov_b32_e32 v41, v37
	v_mov_b32_e32 v40, v36
	s_waitcnt lgkmcnt(0)
	s_sub_u32 s8, s56, s66
	s_subb_u32 s9, s57, 0
	s_lshl_b64 s[58:59], s[58:59], 4
	v_mov_b32_e32 v10, s59
	v_add_co_u32_e32 v59, vcc, s58, v57
	v_addc_co_u32_e32 v60, vcc, v58, v10, vcc
	v_mov_b32_e32 v10, s8
	v_mad_u64_u32 v[38:39], s[58:59], s16, v10, v[30:31]
	s_mul_i32 s15, s8, s11
	s_mul_hi_u32 s60, s8, s10
	v_cmp_gt_i64_e64 s[56:57], s[8:9], -1
	s_add_i32 s15, s60, s15
	s_mul_i32 s60, s9, s10
	s_mul_i32 s67, s8, s10
	;; [unrolled: 1-line block ×4, first 2 shown]
	s_add_i32 s9, s9, s8
	s_add_i32 s15, s15, s60
	v_add_u32_e32 v39, s9, v39
	s_mov_b64 s[58:59], 0
	s_branch .LBB9_16
.LBB9_14:                               ;   in Loop: Header=BB9_16 Depth=3
	v_mov_b32_e32 v45, v25
	v_mov_b32_e32 v43, v23
	;; [unrolled: 1-line block ×4, first 2 shown]
.LBB9_15:                               ;   in Loop: Header=BB9_16 Depth=3
	s_add_u32 s58, s58, 32
	v_add_co_u32_e32 v38, vcc, 0x200, v38
	s_waitcnt lgkmcnt(2)
	v_mov_b32_e32 v10, s10
	s_addc_u32 s59, s59, 0
	v_addc_co_u32_e32 v39, vcc, 0, v39, vcc
	v_mov_b32_e32 v11, s11
	v_add_co_u32_e32 v40, vcc, 0x200, v40
	v_cmp_ge_i64_e64 s[8:9], s[58:59], v[10:11]
	v_addc_co_u32_e32 v41, vcc, 0, v41, vcc
	s_and_b64 vcc, exec, s[8:9]
	s_waitcnt lgkmcnt(0)
	s_barrier
	s_cbranch_vccnz .LBB9_12
.LBB9_16:                               ;   Parent Loop BB9_10 Depth=1
                                        ;     Parent Loop BB9_13 Depth=2
                                        ; =>    This Inner Loop Header: Depth=3
	v_mov_b32_e32 v11, s59
	v_add_co_u32_e32 v10, vcc, s58, v0
	v_addc_co_u32_e32 v11, vcc, 0, v11, vcc
	v_cmp_gt_i64_e32 vcc, s[10:11], v[10:11]
	s_and_b64 s[8:9], s[0:1], vcc
	s_and_b64 s[60:61], s[8:9], s[56:57]
	s_and_b64 vcc, exec, s[48:49]
	s_cbranch_vccz .LBB9_20
; %bb.17:                               ;   in Loop: Header=BB9_16 Depth=3
	s_mov_b64 s[62:63], 0
	s_mov_b64 s[8:9], 0
                                        ; implicit-def: $vgpr14_vgpr15
	s_and_saveexec_b64 s[64:65], s[60:61]
	s_xor_b64 s[64:65], exec, s[64:65]
	s_cbranch_execz .LBB9_19
; %bb.18:                               ;   in Loop: Header=BB9_16 Depth=3
	v_mov_b32_e32 v12, s15
	v_add_co_u32_e32 v10, vcc, s67, v10
	v_addc_co_u32_e32 v11, vcc, v11, v12, vcc
	v_mul_lo_u32 v12, v11, s18
	v_mul_lo_u32 v13, v10, s19
	v_mad_u64_u32 v[10:11], s[68:69], v10, s18, 0
	s_mov_b64 s[8:9], exec
	v_add3_u32 v11, v11, v13, v12
	v_lshlrev_b64 v[10:11], 4, v[10:11]
	v_add_co_u32_e32 v14, vcc, v51, v10
	v_addc_co_u32_e32 v15, vcc, v52, v11, vcc
.LBB9_19:                               ;   in Loop: Header=BB9_16 Depth=3
	s_or_b64 exec, exec, s[64:65]
	s_and_b64 vcc, exec, s[62:63]
	s_cbranch_vccnz .LBB9_21
	s_branch .LBB9_22
.LBB9_20:                               ;   in Loop: Header=BB9_16 Depth=3
	s_mov_b64 s[8:9], 0
                                        ; implicit-def: $vgpr14_vgpr15
	s_cbranch_execz .LBB9_22
.LBB9_21:                               ;   in Loop: Header=BB9_16 Depth=3
	s_andn2_b64 s[8:9], s[8:9], exec
	s_and_b64 s[60:61], s[60:61], exec
	v_mov_b32_e32 v14, v38
	s_or_b64 s[8:9], s[8:9], s[60:61]
	v_mov_b32_e32 v15, v39
.LBB9_22:                               ;   in Loop: Header=BB9_16 Depth=3
	v_mov_b32_e32 v10, 0
	v_mov_b32_e32 v12, 0
	;; [unrolled: 1-line block ×4, first 2 shown]
	s_and_saveexec_b64 s[60:61], s[8:9]
	s_cbranch_execz .LBB9_24
; %bb.23:                               ;   in Loop: Header=BB9_16 Depth=3
	global_load_dwordx4 v[10:13], v[14:15], off
.LBB9_24:                               ;   in Loop: Header=BB9_16 Depth=3
	s_or_b64 exec, exec, s[60:61]
	v_mov_b32_e32 v14, s59
	v_add_co_u32_e32 v16, vcc, s58, v1
	v_addc_co_u32_e32 v17, vcc, 0, v14, vcc
	v_cmp_gt_i64_e32 vcc, s[10:11], v[16:17]
	s_waitcnt vmcnt(0)
	ds_write_b128 v56, v[10:13]
	s_and_b64 s[8:9], s[4:5], vcc
	s_and_b64 s[8:9], s[8:9], s[56:57]
	s_and_b64 vcc, exec, s[22:23]
	s_cbranch_vccz .LBB9_44
; %bb.25:                               ;   in Loop: Header=BB9_16 Depth=3
	s_mov_b64 s[62:63], 0
	s_mov_b64 s[60:61], 0
                                        ; implicit-def: $vgpr14_vgpr15
	s_and_saveexec_b64 s[64:65], s[8:9]
	s_xor_b64 s[64:65], exec, s[64:65]
	s_cbranch_execz .LBB9_27
; %bb.26:                               ;   in Loop: Header=BB9_16 Depth=3
	v_mul_lo_u32 v12, v17, s10
	v_mul_lo_u32 v13, v16, s11
	v_mad_u64_u32 v[10:11], s[68:69], v16, s10, 0
	s_mov_b64 s[60:61], exec
	v_add3_u32 v11, v11, v13, v12
	v_lshlrev_b64 v[10:11], 4, v[10:11]
	v_add_co_u32_e32 v14, vcc, v59, v10
	v_addc_co_u32_e32 v15, vcc, v60, v11, vcc
.LBB9_27:                               ;   in Loop: Header=BB9_16 Depth=3
	s_or_b64 exec, exec, s[64:65]
	s_and_b64 vcc, exec, s[62:63]
	s_cbranch_vccz .LBB9_29
.LBB9_28:                               ;   in Loop: Header=BB9_16 Depth=3
	s_andn2_b64 s[60:61], s[60:61], exec
	s_and_b64 s[8:9], s[8:9], exec
	v_mov_b32_e32 v14, v40
	s_or_b64 s[60:61], s[60:61], s[8:9]
	v_mov_b32_e32 v15, v41
.LBB9_29:                               ;   in Loop: Header=BB9_16 Depth=3
	v_mov_b32_e32 v10, 0
	v_mov_b32_e32 v12, 0
	;; [unrolled: 1-line block ×4, first 2 shown]
	s_and_saveexec_b64 s[8:9], s[60:61]
	s_cbranch_execz .LBB9_31
; %bb.30:                               ;   in Loop: Header=BB9_16 Depth=3
	global_load_dwordx4 v[10:13], v[14:15], off
.LBB9_31:                               ;   in Loop: Header=BB9_16 Depth=3
	s_or_b64 exec, exec, s[8:9]
	v_add_u32_e32 v14, v50, v53
	s_andn2_b64 vcc, exec, s[56:57]
	s_waitcnt vmcnt(0)
	ds_write_b128 v14, v[10:13]
	s_waitcnt lgkmcnt(0)
	s_barrier
	s_cbranch_vccnz .LBB9_15
; %bb.32:                               ;   in Loop: Header=BB9_16 Depth=3
	s_mov_b64 s[8:9], -1
	s_and_b64 vcc, exec, s[38:39]
                                        ; implicit-def: $vgpr22_vgpr23
                                        ; implicit-def: $vgpr24_vgpr25
	s_cbranch_vccz .LBB9_42
; %bb.33:                               ;   in Loop: Header=BB9_16 Depth=3
	s_and_b64 vcc, exec, s[40:41]
                                        ; implicit-def: $vgpr22_vgpr23
                                        ; implicit-def: $vgpr24_vgpr25
	s_cbranch_vccz .LBB9_39
; %bb.34:                               ;   in Loop: Header=BB9_16 Depth=3
	ds_read_b128 v[10:13], v50
	ds_read_b128 v[14:17], v50 offset:512
	ds_read_b128 v[18:21], v50 offset:1024
	s_andn2_b64 vcc, exec, s[42:43]
                                        ; implicit-def: $vgpr22_vgpr23
                                        ; implicit-def: $vgpr24_vgpr25
	s_cbranch_vccnz .LBB9_36
; %bb.35:                               ;   in Loop: Header=BB9_16 Depth=3
	ds_read_b128 v[22:25], v54
	s_mov_b64 s[8:9], 0
	s_waitcnt lgkmcnt(0)
	v_fma_f64 v[26:27], v[10:11], v[22:23], v[44:45]
	v_fma_f64 v[22:23], v[12:13], v[22:23], v[42:43]
	v_fma_f64 v[26:27], -v[12:13], v[24:25], v[26:27]
	v_fma_f64 v[28:29], v[10:11], v[24:25], v[22:23]
	ds_read_b128 v[22:25], v54 offset:16
	s_waitcnt lgkmcnt(0)
	v_fma_f64 v[26:27], v[14:15], v[22:23], v[26:27]
	v_fma_f64 v[22:23], v[16:17], v[22:23], v[28:29]
	v_fma_f64 v[26:27], -v[16:17], v[24:25], v[26:27]
	v_fma_f64 v[28:29], v[14:15], v[24:25], v[22:23]
	ds_read_b128 v[22:25], v54 offset:32
	s_waitcnt lgkmcnt(0)
	v_fma_f64 v[26:27], v[18:19], v[22:23], v[26:27]
	v_fma_f64 v[22:23], v[20:21], v[22:23], v[28:29]
	v_fma_f64 v[26:27], -v[20:21], v[24:25], v[26:27]
	v_fma_f64 v[28:29], v[18:19], v[24:25], v[22:23]
	ds_read_b128 v[22:25], v54 offset:48
	ds_read_b128 v[46:49], v50 offset:1536
	s_waitcnt lgkmcnt(0)
	v_fma_f64 v[26:27], v[46:47], v[22:23], v[26:27]
	v_fma_f64 v[22:23], v[48:49], v[22:23], v[28:29]
	v_fma_f64 v[26:27], -v[48:49], v[24:25], v[26:27]
	v_fma_f64 v[28:29], v[46:47], v[24:25], v[22:23]
	ds_read_b128 v[22:25], v50 offset:2048
	ds_read_b128 v[46:49], v54 offset:64
	s_waitcnt lgkmcnt(0)
	v_fma_f64 v[26:27], v[22:23], v[46:47], v[26:27]
	v_fma_f64 v[28:29], v[24:25], v[46:47], v[28:29]
	v_fma_f64 v[26:27], -v[24:25], v[48:49], v[26:27]
	v_fma_f64 v[28:29], v[22:23], v[48:49], v[28:29]
	ds_read_b128 v[22:25], v50 offset:2560
	;; [unrolled: 7-line block ×28, first 2 shown]
	ds_read_b128 v[26:29], v54 offset:496
	s_waitcnt lgkmcnt(0)
	v_fma_f64 v[48:49], v[22:23], v[26:27], v[48:49]
	v_fma_f64 v[26:27], v[24:25], v[26:27], v[46:47]
	v_fma_f64 v[24:25], -v[24:25], v[28:29], v[48:49]
	v_fma_f64 v[22:23], v[22:23], v[28:29], v[26:27]
.LBB9_36:                               ;   in Loop: Header=BB9_16 Depth=3
	s_andn2_b64 vcc, exec, s[8:9]
	s_cbranch_vccnz .LBB9_38
; %bb.37:                               ;   in Loop: Header=BB9_16 Depth=3
	ds_read_b128 v[22:25], v54
	s_waitcnt lgkmcnt(0)
	v_fma_f64 v[26:27], v[10:11], v[22:23], v[44:45]
	v_fma_f64 v[22:23], -v[12:13], v[22:23], v[42:43]
	v_fma_f64 v[26:27], v[12:13], v[24:25], v[26:27]
	v_fma_f64 v[22:23], v[10:11], v[24:25], v[22:23]
	ds_read_b128 v[10:13], v54 offset:16
	s_waitcnt lgkmcnt(0)
	v_fma_f64 v[24:25], v[14:15], v[10:11], v[26:27]
	v_fma_f64 v[10:11], -v[16:17], v[10:11], v[22:23]
	v_fma_f64 v[16:17], v[16:17], v[12:13], v[24:25]
	v_fma_f64 v[14:15], v[14:15], v[12:13], v[10:11]
	ds_read_b128 v[10:13], v54 offset:32
	;; [unrolled: 6-line block ×3, first 2 shown]
	ds_read_b128 v[14:17], v50 offset:1536
	s_waitcnt lgkmcnt(0)
	v_fma_f64 v[20:21], v[14:15], v[10:11], v[20:21]
	v_fma_f64 v[10:11], -v[16:17], v[10:11], v[18:19]
	v_fma_f64 v[18:19], v[16:17], v[12:13], v[20:21]
	v_fma_f64 v[20:21], v[14:15], v[12:13], v[10:11]
	ds_read_b128 v[10:13], v50 offset:2048
	ds_read_b128 v[14:17], v54 offset:64
	s_waitcnt lgkmcnt(0)
	v_fma_f64 v[18:19], v[10:11], v[14:15], v[18:19]
	v_fma_f64 v[14:15], -v[12:13], v[14:15], v[20:21]
	v_fma_f64 v[18:19], v[12:13], v[16:17], v[18:19]
	v_fma_f64 v[20:21], v[10:11], v[16:17], v[14:15]
	ds_read_b128 v[10:13], v54 offset:80
	;; [unrolled: 7-line block ×28, first 2 shown]
	ds_read_b128 v[18:21], v54 offset:496
	s_waitcnt lgkmcnt(0)
	v_fma_f64 v[16:17], v[10:11], v[18:19], v[16:17]
	v_fma_f64 v[14:15], -v[12:13], v[18:19], v[14:15]
	v_fma_f64 v[24:25], v[12:13], v[20:21], v[16:17]
	v_fma_f64 v[22:23], v[10:11], v[20:21], v[14:15]
.LBB9_38:                               ;   in Loop: Header=BB9_16 Depth=3
	s_mov_b64 s[8:9], 0
.LBB9_39:                               ;   in Loop: Header=BB9_16 Depth=3
	s_andn2_b64 vcc, exec, s[8:9]
	s_cbranch_vccnz .LBB9_41
; %bb.40:                               ;   in Loop: Header=BB9_16 Depth=3
	s_waitcnt lgkmcnt(2)
	ds_read_b128 v[10:13], v50
	s_waitcnt lgkmcnt(2)
	ds_read_b128 v[14:17], v54
	s_waitcnt lgkmcnt(2)
	ds_read_b128 v[18:21], v54 offset:16
	ds_read_b128 v[22:25], v50 offset:512
	s_waitcnt lgkmcnt(2)
	v_fma_f64 v[26:27], v[10:11], v[14:15], v[44:45]
	v_fma_f64 v[14:15], v[12:13], v[14:15], v[42:43]
	v_fma_f64 v[12:13], v[12:13], v[16:17], v[26:27]
	v_fma_f64 v[10:11], v[10:11], -v[16:17], v[14:15]
	s_waitcnt lgkmcnt(0)
	v_fma_f64 v[12:13], v[22:23], v[18:19], v[12:13]
	v_fma_f64 v[10:11], v[24:25], v[18:19], v[10:11]
	v_fma_f64 v[26:27], v[24:25], v[20:21], v[12:13]
	v_fma_f64 v[28:29], v[22:23], -v[20:21], v[10:11]
	ds_read_b128 v[10:13], v50 offset:1024
	ds_read_b128 v[14:17], v54 offset:32
	ds_read_b128 v[18:21], v54 offset:48
	ds_read_b128 v[22:25], v50 offset:1536
	s_waitcnt lgkmcnt(2)
	v_fma_f64 v[26:27], v[10:11], v[14:15], v[26:27]
	v_fma_f64 v[14:15], v[12:13], v[14:15], v[28:29]
	v_fma_f64 v[12:13], v[12:13], v[16:17], v[26:27]
	v_fma_f64 v[10:11], v[10:11], -v[16:17], v[14:15]
	s_waitcnt lgkmcnt(0)
	v_fma_f64 v[12:13], v[22:23], v[18:19], v[12:13]
	v_fma_f64 v[10:11], v[24:25], v[18:19], v[10:11]
	v_fma_f64 v[26:27], v[24:25], v[20:21], v[12:13]
	v_fma_f64 v[28:29], v[22:23], -v[20:21], v[10:11]
	ds_read_b128 v[10:13], v54 offset:64
	ds_read_b128 v[14:17], v50 offset:2048
	;; [unrolled: 14-line block ×15, first 2 shown]
	ds_read_b128 v[18:21], v50 offset:15872
	ds_read_b128 v[46:49], v54 offset:496
	s_waitcnt lgkmcnt(2)
	v_fma_f64 v[22:23], v[14:15], v[10:11], v[22:23]
	v_fma_f64 v[10:11], v[16:17], v[10:11], v[24:25]
	v_fma_f64 v[16:17], v[16:17], v[12:13], v[22:23]
	v_fma_f64 v[10:11], v[14:15], -v[12:13], v[10:11]
	s_waitcnt lgkmcnt(0)
	v_fma_f64 v[12:13], v[18:19], v[46:47], v[16:17]
	v_fma_f64 v[10:11], v[20:21], v[46:47], v[10:11]
	;; [unrolled: 1-line block ×3, first 2 shown]
	v_fma_f64 v[22:23], v[18:19], -v[48:49], v[10:11]
.LBB9_41:                               ;   in Loop: Header=BB9_16 Depth=3
	s_mov_b64 s[8:9], 0
.LBB9_42:                               ;   in Loop: Header=BB9_16 Depth=3
	s_andn2_b64 vcc, exec, s[8:9]
	s_cbranch_vccnz .LBB9_14
; %bb.43:                               ;   in Loop: Header=BB9_16 Depth=3
	s_waitcnt lgkmcnt(2)
	ds_read_b128 v[10:13], v50
	s_waitcnt lgkmcnt(2)
	ds_read_b128 v[14:17], v54
	s_waitcnt lgkmcnt(2)
	ds_read_b128 v[18:21], v54 offset:16
	ds_read_b128 v[22:25], v50 offset:512
	s_waitcnt lgkmcnt(2)
	v_fma_f64 v[26:27], v[10:11], v[14:15], v[44:45]
	v_fma_f64 v[14:15], -v[12:13], v[14:15], v[42:43]
	v_fma_f64 v[12:13], v[12:13], -v[16:17], v[26:27]
	v_fma_f64 v[10:11], v[10:11], -v[16:17], v[14:15]
	s_waitcnt lgkmcnt(0)
	v_fma_f64 v[12:13], v[22:23], v[18:19], v[12:13]
	v_fma_f64 v[10:11], -v[24:25], v[18:19], v[10:11]
	v_fma_f64 v[26:27], v[24:25], -v[20:21], v[12:13]
	v_fma_f64 v[28:29], v[22:23], -v[20:21], v[10:11]
	ds_read_b128 v[10:13], v50 offset:1024
	ds_read_b128 v[14:17], v54 offset:32
	ds_read_b128 v[18:21], v54 offset:48
	ds_read_b128 v[22:25], v50 offset:1536
	s_waitcnt lgkmcnt(2)
	v_fma_f64 v[26:27], v[10:11], v[14:15], v[26:27]
	v_fma_f64 v[14:15], -v[12:13], v[14:15], v[28:29]
	v_fma_f64 v[12:13], v[12:13], -v[16:17], v[26:27]
	v_fma_f64 v[10:11], v[10:11], -v[16:17], v[14:15]
	s_waitcnt lgkmcnt(0)
	v_fma_f64 v[12:13], v[22:23], v[18:19], v[12:13]
	v_fma_f64 v[10:11], -v[24:25], v[18:19], v[10:11]
	v_fma_f64 v[26:27], v[24:25], -v[20:21], v[12:13]
	v_fma_f64 v[28:29], v[22:23], -v[20:21], v[10:11]
	ds_read_b128 v[10:13], v54 offset:64
	ds_read_b128 v[14:17], v50 offset:2048
	;; [unrolled: 14-line block ×15, first 2 shown]
	ds_read_b128 v[18:21], v50 offset:15872
	ds_read_b128 v[42:45], v54 offset:496
	s_waitcnt lgkmcnt(2)
	v_fma_f64 v[22:23], v[14:15], v[10:11], v[22:23]
	v_fma_f64 v[10:11], -v[16:17], v[10:11], v[24:25]
	v_fma_f64 v[16:17], v[16:17], -v[12:13], v[22:23]
	v_fma_f64 v[10:11], v[14:15], -v[12:13], v[10:11]
	s_waitcnt lgkmcnt(0)
	v_fma_f64 v[12:13], v[18:19], v[42:43], v[16:17]
	v_fma_f64 v[10:11], -v[20:21], v[42:43], v[10:11]
	v_fma_f64 v[24:25], v[20:21], -v[44:45], v[12:13]
	v_fma_f64 v[22:23], v[18:19], -v[44:45], v[10:11]
	s_branch .LBB9_14
.LBB9_44:                               ;   in Loop: Header=BB9_16 Depth=3
	s_mov_b64 s[60:61], 0
                                        ; implicit-def: $vgpr14_vgpr15
	s_cbranch_execnz .LBB9_28
	s_branch .LBB9_29
.LBB9_45:                               ;   in Loop: Header=BB9_10 Depth=1
	v_mov_b32_e32 v42, 0
	v_mov_b32_e32 v44, 0
	;; [unrolled: 1-line block ×4, first 2 shown]
.LBB9_46:                               ;   in Loop: Header=BB9_10 Depth=1
	v_mov_b32_e32 v11, s35
	v_add_co_u32_e32 v10, vcc, s34, v34
	v_addc_co_u32_e32 v11, vcc, v35, v11, vcc
	s_mov_b64 s[4:5], -1
	s_and_b64 vcc, exec, s[28:29]
                                        ; implicit-def: $vgpr14_vgpr15
	s_cbranch_vccnz .LBB9_49
; %bb.47:                               ;   in Loop: Header=BB9_10 Depth=1
	s_andn2_b64 vcc, exec, s[4:5]
	s_cbranch_vccz .LBB9_50
.LBB9_48:                               ;   in Loop: Header=BB9_10 Depth=1
	v_cmp_gt_i64_e32 vcc, s[10:11], v[34:35]
	s_and_b64 s[8:9], s[44:45], vcc
	s_and_saveexec_b64 s[4:5], s[8:9]
	s_cbranch_execz .LBB9_9
	s_branch .LBB9_51
.LBB9_49:                               ;   in Loop: Header=BB9_10 Depth=1
	v_mad_u64_u32 v[14:15], s[4:5], v10, s26, v[61:62]
	v_mul_lo_u32 v12, v10, s27
	v_mul_lo_u32 v13, v11, s26
	v_add3_u32 v15, v13, v15, v12
	s_cbranch_execnz .LBB9_48
.LBB9_50:                               ;   in Loop: Header=BB9_10 Depth=1
	buffer_load_dword v12, off, s[72:75], 0 ; 4-byte Folded Reload
	buffer_load_dword v13, off, s[72:75], 0 offset:4 ; 4-byte Folded Reload
	s_waitcnt vmcnt(1)
	v_add_co_u32_e32 v14, vcc, v10, v12
	s_waitcnt vmcnt(0)
	v_addc_co_u32_e32 v15, vcc, v11, v13, vcc
	v_cmp_gt_i64_e32 vcc, s[10:11], v[34:35]
	s_and_b64 s[8:9], s[44:45], vcc
	s_and_saveexec_b64 s[4:5], s[8:9]
	s_cbranch_execz .LBB9_9
.LBB9_51:                               ;   in Loop: Header=BB9_10 Depth=1
	v_mul_f64 v[10:11], v[42:43], -v[4:5]
	v_mul_f64 v[12:13], v[2:3], v[42:43]
	v_lshlrev_b64 v[14:15], 4, v[14:15]
	v_fma_f64 v[10:11], v[2:3], v[44:45], v[10:11]
	v_fma_f64 v[12:13], v[4:5], v[44:45], v[12:13]
	s_and_saveexec_b64 s[8:9], s[46:47]
	s_xor_b64 s[8:9], exec, s[8:9]
	s_cbranch_execz .LBB9_53
; %bb.52:                               ;   in Loop: Header=BB9_10 Depth=1
	v_mov_b32_e32 v16, s25
	v_add_co_u32_e32 v18, vcc, s24, v14
	v_addc_co_u32_e32 v19, vcc, v16, v15, vcc
	global_load_dwordx4 v[14:17], v[18:19], off
	s_waitcnt vmcnt(0)
	v_fma_f64 v[10:11], v[6:7], v[14:15], v[10:11]
	v_fma_f64 v[12:13], v[8:9], v[14:15], v[12:13]
                                        ; implicit-def: $vgpr14_vgpr15
	v_fma_f64 v[10:11], -v[8:9], v[16:17], v[10:11]
	v_fma_f64 v[12:13], v[6:7], v[16:17], v[12:13]
	global_store_dwordx4 v[18:19], v[10:13], off
                                        ; implicit-def: $vgpr10_vgpr11
.LBB9_53:                               ;   in Loop: Header=BB9_10 Depth=1
	s_andn2_saveexec_b64 s[8:9], s[8:9]
	s_cbranch_execz .LBB9_9
; %bb.54:                               ;   in Loop: Header=BB9_10 Depth=1
	v_mov_b32_e32 v16, s25
	v_add_co_u32_e32 v14, vcc, s24, v14
	v_addc_co_u32_e32 v15, vcc, v16, v15, vcc
	global_store_dwordx4 v[14:15], v[10:13], off
	s_branch .LBB9_9
.LBB9_55:
	s_endpgm
.LBB9_56:
                                        ; implicit-def: $sgpr30_sgpr31
	s_branch .LBB9_6
	.section	.rodata,"a",@progbits
	.p2align	6, 0x0
	.amdhsa_kernel _ZN9rocsparseL30bellmm_general_blockdim_kernelILi32ELi32E21rocsparse_complex_numIdElS2_S2_S2_EEv20rocsparse_operation_S3_20rocsparse_direction_T2_S5_NS_24const_host_device_scalarIT1_EES5_S5_PKS5_PKT3_PKT4_l16rocsparse_order_S8_PT5_lSH_21rocsparse_index_base_b
		.amdhsa_group_segment_fixed_size 32768
		.amdhsa_private_segment_fixed_size 12
		.amdhsa_kernarg_size 148
		.amdhsa_user_sgpr_count 6
		.amdhsa_user_sgpr_private_segment_buffer 1
		.amdhsa_user_sgpr_dispatch_ptr 0
		.amdhsa_user_sgpr_queue_ptr 0
		.amdhsa_user_sgpr_kernarg_segment_ptr 1
		.amdhsa_user_sgpr_dispatch_id 0
		.amdhsa_user_sgpr_flat_scratch_init 0
		.amdhsa_user_sgpr_private_segment_size 0
		.amdhsa_uses_dynamic_stack 0
		.amdhsa_system_sgpr_private_segment_wavefront_offset 1
		.amdhsa_system_sgpr_workgroup_id_x 1
		.amdhsa_system_sgpr_workgroup_id_y 1
		.amdhsa_system_sgpr_workgroup_id_z 0
		.amdhsa_system_sgpr_workgroup_info 0
		.amdhsa_system_vgpr_workitem_id 1
		.amdhsa_next_free_vgpr 63
		.amdhsa_next_free_sgpr 76
		.amdhsa_reserve_vcc 1
		.amdhsa_reserve_flat_scratch 0
		.amdhsa_float_round_mode_32 0
		.amdhsa_float_round_mode_16_64 0
		.amdhsa_float_denorm_mode_32 3
		.amdhsa_float_denorm_mode_16_64 3
		.amdhsa_dx10_clamp 1
		.amdhsa_ieee_mode 1
		.amdhsa_fp16_overflow 0
		.amdhsa_exception_fp_ieee_invalid_op 0
		.amdhsa_exception_fp_denorm_src 0
		.amdhsa_exception_fp_ieee_div_zero 0
		.amdhsa_exception_fp_ieee_overflow 0
		.amdhsa_exception_fp_ieee_underflow 0
		.amdhsa_exception_fp_ieee_inexact 0
		.amdhsa_exception_int_div_zero 0
	.end_amdhsa_kernel
	.section	.text._ZN9rocsparseL30bellmm_general_blockdim_kernelILi32ELi32E21rocsparse_complex_numIdElS2_S2_S2_EEv20rocsparse_operation_S3_20rocsparse_direction_T2_S5_NS_24const_host_device_scalarIT1_EES5_S5_PKS5_PKT3_PKT4_l16rocsparse_order_S8_PT5_lSH_21rocsparse_index_base_b,"axG",@progbits,_ZN9rocsparseL30bellmm_general_blockdim_kernelILi32ELi32E21rocsparse_complex_numIdElS2_S2_S2_EEv20rocsparse_operation_S3_20rocsparse_direction_T2_S5_NS_24const_host_device_scalarIT1_EES5_S5_PKS5_PKT3_PKT4_l16rocsparse_order_S8_PT5_lSH_21rocsparse_index_base_b,comdat
.Lfunc_end9:
	.size	_ZN9rocsparseL30bellmm_general_blockdim_kernelILi32ELi32E21rocsparse_complex_numIdElS2_S2_S2_EEv20rocsparse_operation_S3_20rocsparse_direction_T2_S5_NS_24const_host_device_scalarIT1_EES5_S5_PKS5_PKT3_PKT4_l16rocsparse_order_S8_PT5_lSH_21rocsparse_index_base_b, .Lfunc_end9-_ZN9rocsparseL30bellmm_general_blockdim_kernelILi32ELi32E21rocsparse_complex_numIdElS2_S2_S2_EEv20rocsparse_operation_S3_20rocsparse_direction_T2_S5_NS_24const_host_device_scalarIT1_EES5_S5_PKS5_PKT3_PKT4_l16rocsparse_order_S8_PT5_lSH_21rocsparse_index_base_b
                                        ; -- End function
	.set _ZN9rocsparseL30bellmm_general_blockdim_kernelILi32ELi32E21rocsparse_complex_numIdElS2_S2_S2_EEv20rocsparse_operation_S3_20rocsparse_direction_T2_S5_NS_24const_host_device_scalarIT1_EES5_S5_PKS5_PKT3_PKT4_l16rocsparse_order_S8_PT5_lSH_21rocsparse_index_base_b.num_vgpr, 63
	.set _ZN9rocsparseL30bellmm_general_blockdim_kernelILi32ELi32E21rocsparse_complex_numIdElS2_S2_S2_EEv20rocsparse_operation_S3_20rocsparse_direction_T2_S5_NS_24const_host_device_scalarIT1_EES5_S5_PKS5_PKT3_PKT4_l16rocsparse_order_S8_PT5_lSH_21rocsparse_index_base_b.num_agpr, 0
	.set _ZN9rocsparseL30bellmm_general_blockdim_kernelILi32ELi32E21rocsparse_complex_numIdElS2_S2_S2_EEv20rocsparse_operation_S3_20rocsparse_direction_T2_S5_NS_24const_host_device_scalarIT1_EES5_S5_PKS5_PKT3_PKT4_l16rocsparse_order_S8_PT5_lSH_21rocsparse_index_base_b.numbered_sgpr, 76
	.set _ZN9rocsparseL30bellmm_general_blockdim_kernelILi32ELi32E21rocsparse_complex_numIdElS2_S2_S2_EEv20rocsparse_operation_S3_20rocsparse_direction_T2_S5_NS_24const_host_device_scalarIT1_EES5_S5_PKS5_PKT3_PKT4_l16rocsparse_order_S8_PT5_lSH_21rocsparse_index_base_b.num_named_barrier, 0
	.set _ZN9rocsparseL30bellmm_general_blockdim_kernelILi32ELi32E21rocsparse_complex_numIdElS2_S2_S2_EEv20rocsparse_operation_S3_20rocsparse_direction_T2_S5_NS_24const_host_device_scalarIT1_EES5_S5_PKS5_PKT3_PKT4_l16rocsparse_order_S8_PT5_lSH_21rocsparse_index_base_b.private_seg_size, 12
	.set _ZN9rocsparseL30bellmm_general_blockdim_kernelILi32ELi32E21rocsparse_complex_numIdElS2_S2_S2_EEv20rocsparse_operation_S3_20rocsparse_direction_T2_S5_NS_24const_host_device_scalarIT1_EES5_S5_PKS5_PKT3_PKT4_l16rocsparse_order_S8_PT5_lSH_21rocsparse_index_base_b.uses_vcc, 1
	.set _ZN9rocsparseL30bellmm_general_blockdim_kernelILi32ELi32E21rocsparse_complex_numIdElS2_S2_S2_EEv20rocsparse_operation_S3_20rocsparse_direction_T2_S5_NS_24const_host_device_scalarIT1_EES5_S5_PKS5_PKT3_PKT4_l16rocsparse_order_S8_PT5_lSH_21rocsparse_index_base_b.uses_flat_scratch, 0
	.set _ZN9rocsparseL30bellmm_general_blockdim_kernelILi32ELi32E21rocsparse_complex_numIdElS2_S2_S2_EEv20rocsparse_operation_S3_20rocsparse_direction_T2_S5_NS_24const_host_device_scalarIT1_EES5_S5_PKS5_PKT3_PKT4_l16rocsparse_order_S8_PT5_lSH_21rocsparse_index_base_b.has_dyn_sized_stack, 0
	.set _ZN9rocsparseL30bellmm_general_blockdim_kernelILi32ELi32E21rocsparse_complex_numIdElS2_S2_S2_EEv20rocsparse_operation_S3_20rocsparse_direction_T2_S5_NS_24const_host_device_scalarIT1_EES5_S5_PKS5_PKT3_PKT4_l16rocsparse_order_S8_PT5_lSH_21rocsparse_index_base_b.has_recursion, 0
	.set _ZN9rocsparseL30bellmm_general_blockdim_kernelILi32ELi32E21rocsparse_complex_numIdElS2_S2_S2_EEv20rocsparse_operation_S3_20rocsparse_direction_T2_S5_NS_24const_host_device_scalarIT1_EES5_S5_PKS5_PKT3_PKT4_l16rocsparse_order_S8_PT5_lSH_21rocsparse_index_base_b.has_indirect_call, 0
	.section	.AMDGPU.csdata,"",@progbits
; Kernel info:
; codeLenInByte = 9280
; TotalNumSgprs: 80
; NumVgprs: 63
; ScratchSize: 12
; MemoryBound: 1
; FloatMode: 240
; IeeeMode: 1
; LDSByteSize: 32768 bytes/workgroup (compile time only)
; SGPRBlocks: 9
; VGPRBlocks: 15
; NumSGPRsForWavesPerEU: 80
; NumVGPRsForWavesPerEU: 63
; Occupancy: 4
; WaveLimiterHint : 1
; COMPUTE_PGM_RSRC2:SCRATCH_EN: 1
; COMPUTE_PGM_RSRC2:USER_SGPR: 6
; COMPUTE_PGM_RSRC2:TRAP_HANDLER: 0
; COMPUTE_PGM_RSRC2:TGID_X_EN: 1
; COMPUTE_PGM_RSRC2:TGID_Y_EN: 1
; COMPUTE_PGM_RSRC2:TGID_Z_EN: 0
; COMPUTE_PGM_RSRC2:TIDIG_COMP_CNT: 1
	.section	.AMDGPU.gpr_maximums,"",@progbits
	.set amdgpu.max_num_vgpr, 0
	.set amdgpu.max_num_agpr, 0
	.set amdgpu.max_num_sgpr, 0
	.section	.AMDGPU.csdata,"",@progbits
	.type	__hip_cuid_98747edb817b1084,@object ; @__hip_cuid_98747edb817b1084
	.section	.bss,"aw",@nobits
	.globl	__hip_cuid_98747edb817b1084
__hip_cuid_98747edb817b1084:
	.byte	0                               ; 0x0
	.size	__hip_cuid_98747edb817b1084, 1

	.ident	"AMD clang version 22.0.0git (https://github.com/RadeonOpenCompute/llvm-project roc-7.2.4 26084 f58b06dce1f9c15707c5f808fd002e18c2accf7e)"
	.section	".note.GNU-stack","",@progbits
	.addrsig
	.addrsig_sym __hip_cuid_98747edb817b1084
	.amdgpu_metadata
---
amdhsa.kernels:
  - .args:
      - .offset:         0
        .size:           4
        .value_kind:     by_value
      - .offset:         4
        .size:           4
        .value_kind:     by_value
      - .offset:         8
        .size:           4
        .value_kind:     by_value
      - .offset:         12
        .size:           4
        .value_kind:     by_value
      - .offset:         16
        .size:           4
        .value_kind:     by_value
      - .offset:         24
        .size:           8
        .value_kind:     by_value
      - .offset:         32
        .size:           4
        .value_kind:     by_value
      - .offset:         36
        .size:           4
        .value_kind:     by_value
      - .actual_access:  read_only
        .address_space:  global
        .offset:         40
        .size:           8
        .value_kind:     global_buffer
      - .actual_access:  read_only
        .address_space:  global
        .offset:         48
        .size:           8
        .value_kind:     global_buffer
      - .actual_access:  read_only
        .address_space:  global
        .offset:         56
        .size:           8
        .value_kind:     global_buffer
      - .offset:         64
        .size:           8
        .value_kind:     by_value
      - .offset:         72
        .size:           4
        .value_kind:     by_value
      - .offset:         80
        .size:           8
        .value_kind:     by_value
      - .address_space:  global
        .offset:         88
        .size:           8
        .value_kind:     global_buffer
      - .offset:         96
        .size:           8
        .value_kind:     by_value
      - .offset:         104
        .size:           4
        .value_kind:     by_value
      - .offset:         108
        .size:           4
        .value_kind:     by_value
      - .offset:         112
        .size:           1
        .value_kind:     by_value
    .group_segment_fixed_size: 8192
    .kernarg_segment_align: 8
    .kernarg_segment_size: 116
    .language:       OpenCL C
    .language_version:
      - 2
      - 0
    .max_flat_workgroup_size: 1024
    .name:           _ZN9rocsparseL30bellmm_general_blockdim_kernelILi32ELi32EiiiiiEEv20rocsparse_operation_S1_20rocsparse_direction_T2_S3_NS_24const_host_device_scalarIT1_EES3_S3_PKS3_PKT3_PKT4_l16rocsparse_order_S6_PT5_lSF_21rocsparse_index_base_b
    .private_segment_fixed_size: 0
    .sgpr_count:     57
    .sgpr_spill_count: 0
    .symbol:         _ZN9rocsparseL30bellmm_general_blockdim_kernelILi32ELi32EiiiiiEEv20rocsparse_operation_S1_20rocsparse_direction_T2_S3_NS_24const_host_device_scalarIT1_EES3_S3_PKS3_PKT3_PKT4_l16rocsparse_order_S6_PT5_lSF_21rocsparse_index_base_b.kd
    .uniform_work_group_size: 1
    .uses_dynamic_stack: false
    .vgpr_count:     43
    .vgpr_spill_count: 0
    .wavefront_size: 64
  - .args:
      - .offset:         0
        .size:           4
        .value_kind:     by_value
      - .offset:         4
        .size:           4
        .value_kind:     by_value
      - .offset:         8
        .size:           4
        .value_kind:     by_value
      - .offset:         16
        .size:           8
        .value_kind:     by_value
      - .offset:         24
        .size:           8
        .value_kind:     by_value
      - .offset:         32
        .size:           8
        .value_kind:     by_value
      - .offset:         40
        .size:           8
        .value_kind:     by_value
      - .offset:         48
        .size:           8
        .value_kind:     by_value
      - .actual_access:  read_only
        .address_space:  global
        .offset:         56
        .size:           8
        .value_kind:     global_buffer
      - .actual_access:  read_only
        .address_space:  global
        .offset:         64
        .size:           8
        .value_kind:     global_buffer
      - .actual_access:  read_only
        .address_space:  global
        .offset:         72
        .size:           8
        .value_kind:     global_buffer
      - .offset:         80
        .size:           8
        .value_kind:     by_value
      - .offset:         88
        .size:           4
        .value_kind:     by_value
      - .offset:         96
        .size:           8
        .value_kind:     by_value
      - .address_space:  global
        .offset:         104
        .size:           8
        .value_kind:     global_buffer
      - .offset:         112
        .size:           8
        .value_kind:     by_value
      - .offset:         120
        .size:           4
        .value_kind:     by_value
      - .offset:         124
        .size:           4
        .value_kind:     by_value
      - .offset:         128
        .size:           1
        .value_kind:     by_value
    .group_segment_fixed_size: 8192
    .kernarg_segment_align: 8
    .kernarg_segment_size: 132
    .language:       OpenCL C
    .language_version:
      - 2
      - 0
    .max_flat_workgroup_size: 1024
    .name:           _ZN9rocsparseL30bellmm_general_blockdim_kernelILi32ELi32EiliiiEEv20rocsparse_operation_S1_20rocsparse_direction_T2_S3_NS_24const_host_device_scalarIT1_EES3_S3_PKS3_PKT3_PKT4_l16rocsparse_order_S6_PT5_lSF_21rocsparse_index_base_b
    .private_segment_fixed_size: 0
    .sgpr_count:     61
    .sgpr_spill_count: 0
    .symbol:         _ZN9rocsparseL30bellmm_general_blockdim_kernelILi32ELi32EiliiiEEv20rocsparse_operation_S1_20rocsparse_direction_T2_S3_NS_24const_host_device_scalarIT1_EES3_S3_PKS3_PKT3_PKT4_l16rocsparse_order_S6_PT5_lSF_21rocsparse_index_base_b.kd
    .uniform_work_group_size: 1
    .uses_dynamic_stack: false
    .vgpr_count:     53
    .vgpr_spill_count: 0
    .wavefront_size: 64
  - .args:
      - .offset:         0
        .size:           4
        .value_kind:     by_value
      - .offset:         4
        .size:           4
        .value_kind:     by_value
      - .offset:         8
        .size:           4
        .value_kind:     by_value
      - .offset:         12
        .size:           4
        .value_kind:     by_value
      - .offset:         16
        .size:           4
        .value_kind:     by_value
      - .offset:         24
        .size:           8
        .value_kind:     by_value
      - .offset:         32
        .size:           4
        .value_kind:     by_value
      - .offset:         36
        .size:           4
        .value_kind:     by_value
      - .actual_access:  read_only
        .address_space:  global
        .offset:         40
        .size:           8
        .value_kind:     global_buffer
      - .actual_access:  read_only
        .address_space:  global
        .offset:         48
        .size:           8
        .value_kind:     global_buffer
      - .actual_access:  read_only
        .address_space:  global
        .offset:         56
        .size:           8
        .value_kind:     global_buffer
      - .offset:         64
        .size:           8
        .value_kind:     by_value
      - .offset:         72
        .size:           4
        .value_kind:     by_value
      - .offset:         80
        .size:           8
        .value_kind:     by_value
      - .address_space:  global
        .offset:         88
        .size:           8
        .value_kind:     global_buffer
      - .offset:         96
        .size:           8
        .value_kind:     by_value
      - .offset:         104
        .size:           4
        .value_kind:     by_value
      - .offset:         108
        .size:           4
        .value_kind:     by_value
      - .offset:         112
        .size:           1
        .value_kind:     by_value
    .group_segment_fixed_size: 8192
    .kernarg_segment_align: 8
    .kernarg_segment_size: 116
    .language:       OpenCL C
    .language_version:
      - 2
      - 0
    .max_flat_workgroup_size: 1024
    .name:           _ZN9rocsparseL30bellmm_general_blockdim_kernelILi32ELi32EfifffEEv20rocsparse_operation_S1_20rocsparse_direction_T2_S3_NS_24const_host_device_scalarIT1_EES3_S3_PKS3_PKT3_PKT4_l16rocsparse_order_S6_PT5_lSF_21rocsparse_index_base_b
    .private_segment_fixed_size: 0
    .sgpr_count:     57
    .sgpr_spill_count: 0
    .symbol:         _ZN9rocsparseL30bellmm_general_blockdim_kernelILi32ELi32EfifffEEv20rocsparse_operation_S1_20rocsparse_direction_T2_S3_NS_24const_host_device_scalarIT1_EES3_S3_PKS3_PKT3_PKT4_l16rocsparse_order_S6_PT5_lSF_21rocsparse_index_base_b.kd
    .uniform_work_group_size: 1
    .uses_dynamic_stack: false
    .vgpr_count:     46
    .vgpr_spill_count: 0
    .wavefront_size: 64
  - .args:
      - .offset:         0
        .size:           4
        .value_kind:     by_value
      - .offset:         4
        .size:           4
        .value_kind:     by_value
      - .offset:         8
        .size:           4
        .value_kind:     by_value
      - .offset:         16
        .size:           8
        .value_kind:     by_value
      - .offset:         24
        .size:           8
        .value_kind:     by_value
      - .offset:         32
        .size:           8
        .value_kind:     by_value
      - .offset:         40
        .size:           8
        .value_kind:     by_value
      - .offset:         48
        .size:           8
        .value_kind:     by_value
      - .actual_access:  read_only
        .address_space:  global
        .offset:         56
        .size:           8
        .value_kind:     global_buffer
      - .actual_access:  read_only
        .address_space:  global
        .offset:         64
        .size:           8
        .value_kind:     global_buffer
      - .actual_access:  read_only
        .address_space:  global
        .offset:         72
        .size:           8
        .value_kind:     global_buffer
      - .offset:         80
        .size:           8
        .value_kind:     by_value
      - .offset:         88
        .size:           4
        .value_kind:     by_value
      - .offset:         96
        .size:           8
        .value_kind:     by_value
      - .address_space:  global
        .offset:         104
        .size:           8
        .value_kind:     global_buffer
      - .offset:         112
        .size:           8
        .value_kind:     by_value
      - .offset:         120
        .size:           4
        .value_kind:     by_value
      - .offset:         124
        .size:           4
        .value_kind:     by_value
      - .offset:         128
        .size:           1
        .value_kind:     by_value
    .group_segment_fixed_size: 8192
    .kernarg_segment_align: 8
    .kernarg_segment_size: 132
    .language:       OpenCL C
    .language_version:
      - 2
      - 0
    .max_flat_workgroup_size: 1024
    .name:           _ZN9rocsparseL30bellmm_general_blockdim_kernelILi32ELi32EflfffEEv20rocsparse_operation_S1_20rocsparse_direction_T2_S3_NS_24const_host_device_scalarIT1_EES3_S3_PKS3_PKT3_PKT4_l16rocsparse_order_S6_PT5_lSF_21rocsparse_index_base_b
    .private_segment_fixed_size: 0
    .sgpr_count:     64
    .sgpr_spill_count: 0
    .symbol:         _ZN9rocsparseL30bellmm_general_blockdim_kernelILi32ELi32EflfffEEv20rocsparse_operation_S1_20rocsparse_direction_T2_S3_NS_24const_host_device_scalarIT1_EES3_S3_PKS3_PKT3_PKT4_l16rocsparse_order_S6_PT5_lSF_21rocsparse_index_base_b.kd
    .uniform_work_group_size: 1
    .uses_dynamic_stack: false
    .vgpr_count:     55
    .vgpr_spill_count: 0
    .wavefront_size: 64
  - .args:
      - .offset:         0
        .size:           4
        .value_kind:     by_value
      - .offset:         4
        .size:           4
        .value_kind:     by_value
      - .offset:         8
        .size:           4
        .value_kind:     by_value
      - .offset:         12
        .size:           4
        .value_kind:     by_value
      - .offset:         16
        .size:           4
        .value_kind:     by_value
      - .offset:         24
        .size:           8
        .value_kind:     by_value
      - .offset:         32
        .size:           4
        .value_kind:     by_value
      - .offset:         36
        .size:           4
        .value_kind:     by_value
      - .actual_access:  read_only
        .address_space:  global
        .offset:         40
        .size:           8
        .value_kind:     global_buffer
      - .actual_access:  read_only
        .address_space:  global
        .offset:         48
        .size:           8
        .value_kind:     global_buffer
      - .actual_access:  read_only
        .address_space:  global
        .offset:         56
        .size:           8
        .value_kind:     global_buffer
      - .offset:         64
        .size:           8
        .value_kind:     by_value
      - .offset:         72
        .size:           4
        .value_kind:     by_value
      - .offset:         80
        .size:           8
        .value_kind:     by_value
      - .address_space:  global
        .offset:         88
        .size:           8
        .value_kind:     global_buffer
      - .offset:         96
        .size:           8
        .value_kind:     by_value
      - .offset:         104
        .size:           4
        .value_kind:     by_value
      - .offset:         108
        .size:           4
        .value_kind:     by_value
      - .offset:         112
        .size:           1
        .value_kind:     by_value
    .group_segment_fixed_size: 16384
    .kernarg_segment_align: 8
    .kernarg_segment_size: 116
    .language:       OpenCL C
    .language_version:
      - 2
      - 0
    .max_flat_workgroup_size: 1024
    .name:           _ZN9rocsparseL30bellmm_general_blockdim_kernelILi32ELi32EdidddEEv20rocsparse_operation_S1_20rocsparse_direction_T2_S3_NS_24const_host_device_scalarIT1_EES3_S3_PKS3_PKT3_PKT4_l16rocsparse_order_S6_PT5_lSF_21rocsparse_index_base_b
    .private_segment_fixed_size: 0
    .sgpr_count:     53
    .sgpr_spill_count: 0
    .symbol:         _ZN9rocsparseL30bellmm_general_blockdim_kernelILi32ELi32EdidddEEv20rocsparse_operation_S1_20rocsparse_direction_T2_S3_NS_24const_host_device_scalarIT1_EES3_S3_PKS3_PKT3_PKT4_l16rocsparse_order_S6_PT5_lSF_21rocsparse_index_base_b.kd
    .uniform_work_group_size: 1
    .uses_dynamic_stack: false
    .vgpr_count:     41
    .vgpr_spill_count: 0
    .wavefront_size: 64
  - .args:
      - .offset:         0
        .size:           4
        .value_kind:     by_value
      - .offset:         4
        .size:           4
        .value_kind:     by_value
      - .offset:         8
        .size:           4
        .value_kind:     by_value
      - .offset:         16
        .size:           8
        .value_kind:     by_value
      - .offset:         24
        .size:           8
        .value_kind:     by_value
      - .offset:         32
        .size:           8
        .value_kind:     by_value
      - .offset:         40
        .size:           8
        .value_kind:     by_value
      - .offset:         48
        .size:           8
        .value_kind:     by_value
      - .actual_access:  read_only
        .address_space:  global
        .offset:         56
        .size:           8
        .value_kind:     global_buffer
      - .actual_access:  read_only
        .address_space:  global
        .offset:         64
        .size:           8
        .value_kind:     global_buffer
      - .actual_access:  read_only
        .address_space:  global
        .offset:         72
        .size:           8
        .value_kind:     global_buffer
      - .offset:         80
        .size:           8
        .value_kind:     by_value
      - .offset:         88
        .size:           4
        .value_kind:     by_value
      - .offset:         96
        .size:           8
        .value_kind:     by_value
      - .address_space:  global
        .offset:         104
        .size:           8
        .value_kind:     global_buffer
      - .offset:         112
        .size:           8
        .value_kind:     by_value
      - .offset:         120
        .size:           4
        .value_kind:     by_value
      - .offset:         124
        .size:           4
        .value_kind:     by_value
      - .offset:         128
        .size:           1
        .value_kind:     by_value
    .group_segment_fixed_size: 16384
    .kernarg_segment_align: 8
    .kernarg_segment_size: 132
    .language:       OpenCL C
    .language_version:
      - 2
      - 0
    .max_flat_workgroup_size: 1024
    .name:           _ZN9rocsparseL30bellmm_general_blockdim_kernelILi32ELi32EdldddEEv20rocsparse_operation_S1_20rocsparse_direction_T2_S3_NS_24const_host_device_scalarIT1_EES3_S3_PKS3_PKT3_PKT4_l16rocsparse_order_S6_PT5_lSF_21rocsparse_index_base_b
    .private_segment_fixed_size: 0
    .sgpr_count:     60
    .sgpr_spill_count: 0
    .symbol:         _ZN9rocsparseL30bellmm_general_blockdim_kernelILi32ELi32EdldddEEv20rocsparse_operation_S1_20rocsparse_direction_T2_S3_NS_24const_host_device_scalarIT1_EES3_S3_PKS3_PKT3_PKT4_l16rocsparse_order_S6_PT5_lSF_21rocsparse_index_base_b.kd
    .uniform_work_group_size: 1
    .uses_dynamic_stack: false
    .vgpr_count:     52
    .vgpr_spill_count: 0
    .wavefront_size: 64
  - .args:
      - .offset:         0
        .size:           4
        .value_kind:     by_value
      - .offset:         4
        .size:           4
        .value_kind:     by_value
      - .offset:         8
        .size:           4
        .value_kind:     by_value
      - .offset:         12
        .size:           4
        .value_kind:     by_value
      - .offset:         16
        .size:           4
        .value_kind:     by_value
      - .offset:         24
        .size:           8
        .value_kind:     by_value
      - .offset:         32
        .size:           4
        .value_kind:     by_value
      - .offset:         36
        .size:           4
        .value_kind:     by_value
      - .actual_access:  read_only
        .address_space:  global
        .offset:         40
        .size:           8
        .value_kind:     global_buffer
      - .actual_access:  read_only
        .address_space:  global
        .offset:         48
        .size:           8
        .value_kind:     global_buffer
      - .actual_access:  read_only
        .address_space:  global
        .offset:         56
        .size:           8
        .value_kind:     global_buffer
      - .offset:         64
        .size:           8
        .value_kind:     by_value
      - .offset:         72
        .size:           4
        .value_kind:     by_value
      - .offset:         80
        .size:           8
        .value_kind:     by_value
      - .address_space:  global
        .offset:         88
        .size:           8
        .value_kind:     global_buffer
      - .offset:         96
        .size:           8
        .value_kind:     by_value
      - .offset:         104
        .size:           4
        .value_kind:     by_value
      - .offset:         108
        .size:           4
        .value_kind:     by_value
      - .offset:         112
        .size:           1
        .value_kind:     by_value
    .group_segment_fixed_size: 16384
    .kernarg_segment_align: 8
    .kernarg_segment_size: 116
    .language:       OpenCL C
    .language_version:
      - 2
      - 0
    .max_flat_workgroup_size: 1024
    .name:           _ZN9rocsparseL30bellmm_general_blockdim_kernelILi32ELi32E21rocsparse_complex_numIfEiS2_S2_S2_EEv20rocsparse_operation_S3_20rocsparse_direction_T2_S5_NS_24const_host_device_scalarIT1_EES5_S5_PKS5_PKT3_PKT4_l16rocsparse_order_S8_PT5_lSH_21rocsparse_index_base_b
    .private_segment_fixed_size: 0
    .sgpr_count:     62
    .sgpr_spill_count: 0
    .symbol:         _ZN9rocsparseL30bellmm_general_blockdim_kernelILi32ELi32E21rocsparse_complex_numIfEiS2_S2_S2_EEv20rocsparse_operation_S3_20rocsparse_direction_T2_S5_NS_24const_host_device_scalarIT1_EES5_S5_PKS5_PKT3_PKT4_l16rocsparse_order_S8_PT5_lSH_21rocsparse_index_base_b.kd
    .uniform_work_group_size: 1
    .uses_dynamic_stack: false
    .vgpr_count:     58
    .vgpr_spill_count: 0
    .wavefront_size: 64
  - .args:
      - .offset:         0
        .size:           4
        .value_kind:     by_value
      - .offset:         4
        .size:           4
        .value_kind:     by_value
      - .offset:         8
        .size:           4
        .value_kind:     by_value
      - .offset:         16
        .size:           8
        .value_kind:     by_value
      - .offset:         24
        .size:           8
        .value_kind:     by_value
      - .offset:         32
        .size:           8
        .value_kind:     by_value
      - .offset:         40
        .size:           8
        .value_kind:     by_value
      - .offset:         48
        .size:           8
        .value_kind:     by_value
      - .actual_access:  read_only
        .address_space:  global
        .offset:         56
        .size:           8
        .value_kind:     global_buffer
      - .actual_access:  read_only
        .address_space:  global
        .offset:         64
        .size:           8
        .value_kind:     global_buffer
      - .actual_access:  read_only
        .address_space:  global
        .offset:         72
        .size:           8
        .value_kind:     global_buffer
      - .offset:         80
        .size:           8
        .value_kind:     by_value
      - .offset:         88
        .size:           4
        .value_kind:     by_value
      - .offset:         96
        .size:           8
        .value_kind:     by_value
      - .address_space:  global
        .offset:         104
        .size:           8
        .value_kind:     global_buffer
      - .offset:         112
        .size:           8
        .value_kind:     by_value
      - .offset:         120
        .size:           4
        .value_kind:     by_value
      - .offset:         124
        .size:           4
        .value_kind:     by_value
      - .offset:         128
        .size:           1
        .value_kind:     by_value
    .group_segment_fixed_size: 16384
    .kernarg_segment_align: 8
    .kernarg_segment_size: 132
    .language:       OpenCL C
    .language_version:
      - 2
      - 0
    .max_flat_workgroup_size: 1024
    .name:           _ZN9rocsparseL30bellmm_general_blockdim_kernelILi32ELi32E21rocsparse_complex_numIfElS2_S2_S2_EEv20rocsparse_operation_S3_20rocsparse_direction_T2_S5_NS_24const_host_device_scalarIT1_EES5_S5_PKS5_PKT3_PKT4_l16rocsparse_order_S8_PT5_lSH_21rocsparse_index_base_b
    .private_segment_fixed_size: 12
    .sgpr_count:     80
    .sgpr_spill_count: 0
    .symbol:         _ZN9rocsparseL30bellmm_general_blockdim_kernelILi32ELi32E21rocsparse_complex_numIfElS2_S2_S2_EEv20rocsparse_operation_S3_20rocsparse_direction_T2_S5_NS_24const_host_device_scalarIT1_EES5_S5_PKS5_PKT3_PKT4_l16rocsparse_order_S8_PT5_lSH_21rocsparse_index_base_b.kd
    .uniform_work_group_size: 1
    .uses_dynamic_stack: false
    .vgpr_count:     64
    .vgpr_spill_count: 2
    .wavefront_size: 64
  - .args:
      - .offset:         0
        .size:           4
        .value_kind:     by_value
      - .offset:         4
        .size:           4
        .value_kind:     by_value
      - .offset:         8
        .size:           4
        .value_kind:     by_value
      - .offset:         12
        .size:           4
        .value_kind:     by_value
      - .offset:         16
        .size:           4
        .value_kind:     by_value
      - .offset:         24
        .size:           16
        .value_kind:     by_value
      - .offset:         40
        .size:           4
        .value_kind:     by_value
      - .offset:         44
        .size:           4
        .value_kind:     by_value
      - .actual_access:  read_only
        .address_space:  global
        .offset:         48
        .size:           8
        .value_kind:     global_buffer
      - .actual_access:  read_only
        .address_space:  global
        .offset:         56
        .size:           8
        .value_kind:     global_buffer
      - .actual_access:  read_only
        .address_space:  global
        .offset:         64
        .size:           8
        .value_kind:     global_buffer
      - .offset:         72
        .size:           8
        .value_kind:     by_value
      - .offset:         80
        .size:           4
        .value_kind:     by_value
      - .offset:         88
        .size:           16
        .value_kind:     by_value
      - .address_space:  global
        .offset:         104
        .size:           8
        .value_kind:     global_buffer
      - .offset:         112
        .size:           8
        .value_kind:     by_value
      - .offset:         120
        .size:           4
        .value_kind:     by_value
      - .offset:         124
        .size:           4
        .value_kind:     by_value
      - .offset:         128
        .size:           1
        .value_kind:     by_value
    .group_segment_fixed_size: 32768
    .kernarg_segment_align: 8
    .kernarg_segment_size: 132
    .language:       OpenCL C
    .language_version:
      - 2
      - 0
    .max_flat_workgroup_size: 1024
    .name:           _ZN9rocsparseL30bellmm_general_blockdim_kernelILi32ELi32E21rocsparse_complex_numIdEiS2_S2_S2_EEv20rocsparse_operation_S3_20rocsparse_direction_T2_S5_NS_24const_host_device_scalarIT1_EES5_S5_PKS5_PKT3_PKT4_l16rocsparse_order_S8_PT5_lSH_21rocsparse_index_base_b
    .private_segment_fixed_size: 0
    .sgpr_count:     62
    .sgpr_spill_count: 0
    .symbol:         _ZN9rocsparseL30bellmm_general_blockdim_kernelILi32ELi32E21rocsparse_complex_numIdEiS2_S2_S2_EEv20rocsparse_operation_S3_20rocsparse_direction_T2_S5_NS_24const_host_device_scalarIT1_EES5_S5_PKS5_PKT3_PKT4_l16rocsparse_order_S8_PT5_lSH_21rocsparse_index_base_b.kd
    .uniform_work_group_size: 1
    .uses_dynamic_stack: false
    .vgpr_count:     60
    .vgpr_spill_count: 0
    .wavefront_size: 64
  - .args:
      - .offset:         0
        .size:           4
        .value_kind:     by_value
      - .offset:         4
        .size:           4
        .value_kind:     by_value
      - .offset:         8
        .size:           4
        .value_kind:     by_value
      - .offset:         16
        .size:           8
        .value_kind:     by_value
      - .offset:         24
        .size:           8
        .value_kind:     by_value
      - .offset:         32
        .size:           16
        .value_kind:     by_value
      - .offset:         48
        .size:           8
        .value_kind:     by_value
      - .offset:         56
        .size:           8
        .value_kind:     by_value
      - .actual_access:  read_only
        .address_space:  global
        .offset:         64
        .size:           8
        .value_kind:     global_buffer
      - .actual_access:  read_only
        .address_space:  global
        .offset:         72
        .size:           8
        .value_kind:     global_buffer
      - .actual_access:  read_only
        .address_space:  global
        .offset:         80
        .size:           8
        .value_kind:     global_buffer
      - .offset:         88
        .size:           8
        .value_kind:     by_value
      - .offset:         96
        .size:           4
        .value_kind:     by_value
      - .offset:         104
        .size:           16
        .value_kind:     by_value
      - .address_space:  global
        .offset:         120
        .size:           8
        .value_kind:     global_buffer
      - .offset:         128
        .size:           8
        .value_kind:     by_value
      - .offset:         136
        .size:           4
        .value_kind:     by_value
      - .offset:         140
        .size:           4
        .value_kind:     by_value
      - .offset:         144
        .size:           1
        .value_kind:     by_value
    .group_segment_fixed_size: 32768
    .kernarg_segment_align: 8
    .kernarg_segment_size: 148
    .language:       OpenCL C
    .language_version:
      - 2
      - 0
    .max_flat_workgroup_size: 1024
    .name:           _ZN9rocsparseL30bellmm_general_blockdim_kernelILi32ELi32E21rocsparse_complex_numIdElS2_S2_S2_EEv20rocsparse_operation_S3_20rocsparse_direction_T2_S5_NS_24const_host_device_scalarIT1_EES5_S5_PKS5_PKT3_PKT4_l16rocsparse_order_S8_PT5_lSH_21rocsparse_index_base_b
    .private_segment_fixed_size: 12
    .sgpr_count:     80
    .sgpr_spill_count: 0
    .symbol:         _ZN9rocsparseL30bellmm_general_blockdim_kernelILi32ELi32E21rocsparse_complex_numIdElS2_S2_S2_EEv20rocsparse_operation_S3_20rocsparse_direction_T2_S5_NS_24const_host_device_scalarIT1_EES5_S5_PKS5_PKT3_PKT4_l16rocsparse_order_S8_PT5_lSH_21rocsparse_index_base_b.kd
    .uniform_work_group_size: 1
    .uses_dynamic_stack: false
    .vgpr_count:     63
    .vgpr_spill_count: 2
    .wavefront_size: 64
amdhsa.target:   amdgcn-amd-amdhsa--gfx906
amdhsa.version:
  - 1
  - 2
...

	.end_amdgpu_metadata
